;; amdgpu-corpus repo=ROCm/vllm kind=compiled arch=gfx1250 opt=O3
	.amdgcn_target "amdgcn-amd-amdhsa--gfx1250"
	.amdhsa_code_object_version 6
	.section	.text._ZN4vllm15rms_norm_kernelIfEEvPT_PKS1_lS4_fii,"axG",@progbits,_ZN4vllm15rms_norm_kernelIfEEvPT_PKS1_lS4_fii,comdat
	.protected	_ZN4vllm15rms_norm_kernelIfEEvPT_PKS1_lS4_fii ; -- Begin function _ZN4vllm15rms_norm_kernelIfEEvPT_PKS1_lS4_fii
	.globl	_ZN4vllm15rms_norm_kernelIfEEvPT_PKS1_lS4_fii
	.p2align	8
	.type	_ZN4vllm15rms_norm_kernelIfEEvPT_PKS1_lS4_fii,@function
_ZN4vllm15rms_norm_kernelIfEEvPT_PKS1_lS4_fii: ; @_ZN4vllm15rms_norm_kernelIfEEvPT_PKS1_lS4_fii
; %bb.0:
	s_load_b32 s16, s[0:1], 0x28
	s_getreg_b32 s12, hwreg(HW_REG_IB_STS2, 6, 4)
	s_mov_b32 s3, exec_lo
                                        ; implicit-def: $sgpr13
                                        ; implicit-def: $sgpr14
	s_wait_kmcnt 0x0
	v_cmp_gt_i32_e64 s2, s16, v0
	v_cmpx_le_i32_e64 s16, v0
	s_xor_b32 s3, exec_lo, s3
	s_cbranch_execz .LBB0_2
; %bb.1:
	s_load_b32 s4, s[0:1], 0x3c
	s_bfe_u32 s5, ttmp6, 0x4000c
	s_and_b32 s6, ttmp6, 15
	s_add_co_i32 s5, s5, 1
	s_delay_alu instid0(SALU_CYCLE_1) | instskip(NEXT) | instid1(SALU_CYCLE_1)
	s_mul_i32 s5, ttmp9, s5
	s_add_co_i32 s6, s6, s5
	s_cmp_eq_u32 s12, 0
	s_cselect_b32 s13, ttmp9, s6
	s_wait_kmcnt 0x0
	s_and_b32 s14, s4, 0xffff
.LBB0_2:
	s_or_saveexec_b32 s3, s3
	s_load_b256 s[4:11], s[0:1], 0x0
	v_dual_mov_b32 v3, 0 :: v_dual_mov_b32 v2, s13
	v_mov_b32_e32 v4, s14
	s_xor_b32 exec_lo, exec_lo, s3
	s_cbranch_execz .LBB0_6
; %bb.3:
	s_load_b32 s17, s[0:1], 0x3c
	s_bfe_u32 s13, ttmp6, 0x4000c
	s_and_b32 s14, ttmp6, 15
	s_add_co_i32 s13, s13, 1
	v_dual_mov_b32 v3, 0 :: v_dual_mov_b32 v1, v0
	s_mul_i32 s13, ttmp9, s13
	s_delay_alu instid0(SALU_CYCLE_1)
	s_add_co_i32 s14, s14, s13
	s_cmp_eq_u32 s12, 0
	s_mov_b32 s13, 0
	s_cselect_b32 s12, ttmp9, s14
	s_wait_kmcnt 0x0
	s_mul_u64 s[14:15], s[8:9], s[12:13]
	s_delay_alu instid0(SALU_CYCLE_1) | instskip(NEXT) | instid1(SALU_CYCLE_1)
	s_lshl_b64 s[14:15], s[14:15], 2
	s_add_nc_u64 s[14:15], s[6:7], s[14:15]
	s_and_b32 s17, s17, 0xffff
.LBB0_4:                                ; =>This Inner Loop Header: Depth=1
	global_load_b32 v2, v1, s[14:15] scale_offset
	s_wait_loadcnt 0x0
	v_dual_add_nc_u32 v1, s17, v1 :: v_dual_fmac_f32 v3, v2, v2
	s_delay_alu instid0(VALU_DEP_1) | instskip(SKIP_1) | instid1(SALU_CYCLE_1)
	v_cmp_le_i32_e32 vcc_lo, s16, v1
	s_or_b32 s13, vcc_lo, s13
	s_and_not1_b32 exec_lo, exec_lo, s13
	s_cbranch_execnz .LBB0_4
; %bb.5:
	s_or_b32 exec_lo, exec_lo, s13
	v_dual_mov_b32 v2, s12 :: v_dual_mov_b32 v4, s17
.LBB0_6:
	s_or_b32 exec_lo, exec_lo, s3
	v_mbcnt_lo_u32_b32 v1, -1, 0
	v_and_b32_e32 v6, 0x3c0, v0
	s_mov_b32 s3, exec_lo
	s_delay_alu instid0(VALU_DEP_2) | instskip(NEXT) | instid1(VALU_DEP_2)
	v_cmp_ne_u32_e32 vcc_lo, 63, v1
	v_sub_nc_u32_e64 v6, v4, v6 clamp
	v_add_nc_u32_e32 v8, 1, v1
	v_add_co_ci_u32_e64 v5, null, 0, v1, vcc_lo
	v_cmp_gt_u32_e32 vcc_lo, 62, v1
	s_delay_alu instid0(VALU_DEP_2)
	v_lshlrev_b32_e32 v5, 2, v5
	v_cndmask_b32_e64 v7, 0, 2, vcc_lo
	v_cmp_lt_u32_e32 vcc_lo, v8, v6
	v_add_nc_u32_e32 v8, 2, v1
	ds_bpermute_b32 v5, v5, v3
	v_add_lshl_u32 v7, v7, v1, 2
	s_wait_dscnt 0x0
	v_add_f32_e32 v5, v3, v5
	s_delay_alu instid0(VALU_DEP_1)
	v_cndmask_b32_e32 v3, v3, v5, vcc_lo
	v_cmp_gt_u32_e32 vcc_lo, 60, v1
	ds_bpermute_b32 v5, v7, v3
	v_cndmask_b32_e64 v7, 0, 4, vcc_lo
	v_cmp_lt_u32_e32 vcc_lo, v8, v6
	v_add_nc_u32_e32 v8, 4, v1
	s_delay_alu instid0(VALU_DEP_3) | instskip(SKIP_2) | instid1(VALU_DEP_1)
	v_add_lshl_u32 v7, v7, v1, 2
	s_wait_dscnt 0x0
	v_add_f32_e32 v5, v3, v5
	v_cndmask_b32_e32 v3, v3, v5, vcc_lo
	v_cmp_gt_u32_e32 vcc_lo, 56, v1
	ds_bpermute_b32 v5, v7, v3
	v_cndmask_b32_e64 v7, 0, 8, vcc_lo
	v_cmp_lt_u32_e32 vcc_lo, v8, v6
	v_add_nc_u32_e32 v8, 8, v1
	s_delay_alu instid0(VALU_DEP_3) | instskip(SKIP_2) | instid1(VALU_DEP_1)
	v_add_lshl_u32 v7, v7, v1, 2
	s_wait_dscnt 0x0
	v_add_f32_e32 v5, v3, v5
	v_cndmask_b32_e32 v3, v3, v5, vcc_lo
	v_cmp_gt_u32_e32 vcc_lo, 48, v1
	ds_bpermute_b32 v5, v7, v3
	v_cndmask_b32_e64 v7, 0, 16, vcc_lo
	v_cmp_lt_u32_e32 vcc_lo, v8, v6
	s_delay_alu instid0(VALU_DEP_2) | instskip(SKIP_2) | instid1(VALU_DEP_1)
	v_add_lshl_u32 v7, v7, v1, 2
	s_wait_dscnt 0x0
	v_add_f32_e32 v5, v3, v5
	v_cndmask_b32_e32 v5, v3, v5, vcc_lo
	ds_bpermute_b32 v3, v7, v5
	v_add_nc_u32_e32 v7, 16, v1
	s_delay_alu instid0(VALU_DEP_1) | instskip(SKIP_2) | instid1(VALU_DEP_1)
	v_cmp_lt_u32_e32 vcc_lo, v7, v6
	s_wait_dscnt 0x0
	v_dual_add_f32 v8, v5, v3 :: v_dual_lshlrev_b32 v3, 2, v1
	v_dual_cndmask_b32 v5, v5, v8, vcc_lo :: v_dual_bitop2_b32 v8, 32, v1 bitop3:0x54
	ds_bpermute_b32 v7, v3, v5 offset:128
	v_cmp_lt_u32_e32 vcc_lo, v8, v6
	s_wait_dscnt 0x0
	v_add_f32_e32 v7, v5, v7
	s_delay_alu instid0(VALU_DEP_1)
	v_cndmask_b32_e32 v5, v5, v7, vcc_lo
	v_cmpx_eq_u32_e32 0, v1
; %bb.7:
	v_lshrrev_b32_e32 v6, 4, v0
	s_delay_alu instid0(VALU_DEP_1)
	v_and_b32_e32 v6, 60, v6
	ds_store_b32 v6, v5
; %bb.8:
	s_or_b32 exec_lo, exec_lo, s3
	s_delay_alu instid0(SALU_CYCLE_1)
	s_mov_b32 s12, exec_lo
	s_wait_dscnt 0x0
	s_barrier_signal -1
	s_barrier_wait -1
	v_cmpx_gt_u32_e32 16, v0
	s_cbranch_execz .LBB0_10
; %bb.9:
	ds_load_b32 v5, v3
	v_and_b32_e32 v6, 15, v1
	v_or_b32_e32 v3, 32, v3
	s_delay_alu instid0(VALU_DEP_2) | instskip(SKIP_1) | instid1(VALU_DEP_1)
	v_cmp_ne_u32_e32 vcc_lo, 15, v6
	v_add_co_ci_u32_e64 v7, null, 0, v1, vcc_lo
	v_dual_lshlrev_b32 v7, 2, v7 :: v_dual_add_nc_u32 v8, 63, v4
	v_add_nc_u32_e32 v10, 1, v6
	v_cmp_gt_u32_e32 vcc_lo, 14, v6
	v_add_nc_u32_e32 v11, 2, v6
	s_wait_dscnt 0x0
	ds_bpermute_b32 v7, v7, v5
	v_lshrrev_b32_e32 v8, 6, v8
	v_cmp_gt_u32_e64 s3, 12, v6
	v_cndmask_b32_e64 v9, 0, 2, vcc_lo
	s_delay_alu instid0(VALU_DEP_1)
	v_add_lshl_u32 v9, v9, v1, 2
	s_wait_dscnt 0x0
	v_add_f32_e32 v7, v5, v7
	v_cmp_lt_u32_e32 vcc_lo, v10, v8
	v_cndmask_b32_e64 v10, 0, 4, s3
	v_cmp_lt_u32_e64 s3, v11, v8
	s_delay_alu instid0(VALU_DEP_4) | instskip(NEXT) | instid1(VALU_DEP_3)
	v_cndmask_b32_e32 v7, v5, v7, vcc_lo
	v_add_lshl_u32 v1, v10, v1, 2
	ds_bpermute_b32 v9, v9, v7
	s_wait_dscnt 0x0
	v_add_f32_e32 v9, v7, v9
	s_delay_alu instid0(VALU_DEP_1)
	v_dual_cndmask_b32 v7, v7, v9, s3 :: v_dual_add_nc_u32 v9, 4, v6
	v_add_nc_u32_e32 v6, 8, v6
	ds_bpermute_b32 v1, v1, v7
	v_cmp_lt_u32_e64 s3, v9, v8
	s_wait_dscnt 0x0
	v_add_f32_e32 v1, v7, v1
	s_delay_alu instid0(VALU_DEP_1) | instskip(SKIP_4) | instid1(VALU_DEP_1)
	v_cndmask_b32_e64 v1, v7, v1, s3
	v_cmp_lt_u32_e64 s3, v6, v8
	ds_bpermute_b32 v3, v3, v1
	s_wait_dscnt 0x0
	v_add_f32_e32 v3, v1, v3
	v_cndmask_b32_e64 v1, v1, v3, s3
	s_delay_alu instid0(VALU_DEP_1)
	v_cndmask_b32_e32 v5, v5, v1, vcc_lo
.LBB0_10:
	s_or_b32 exec_lo, exec_lo, s12
	s_delay_alu instid0(SALU_CYCLE_1)
	s_mov_b32 s3, exec_lo
	v_cmpx_eq_u32_e32 0, v0
	s_cbranch_execz .LBB0_12
; %bb.11:
	s_cvt_f32_i32 s12, s16
	s_wait_xcnt 0x0
	s_load_b32 s0, s[0:1], 0x20
	s_delay_alu instid0(SALU_CYCLE_1) | instskip(SKIP_1) | instid1(VALU_DEP_2)
	v_div_scale_f32 v1, null, s12, s12, v5
	v_div_scale_f32 v7, vcc_lo, v5, s12, v5
	v_rcp_f32_e32 v3, v1
	v_nop
	s_delay_alu instid0(TRANS32_DEP_1) | instskip(NEXT) | instid1(VALU_DEP_1)
	v_fma_f32 v6, -v1, v3, 1.0
	v_fmac_f32_e32 v3, v6, v3
	s_delay_alu instid0(VALU_DEP_1) | instskip(NEXT) | instid1(VALU_DEP_1)
	v_mul_f32_e32 v6, v7, v3
	v_fma_f32 v8, -v1, v6, v7
	s_delay_alu instid0(VALU_DEP_1) | instskip(NEXT) | instid1(VALU_DEP_1)
	v_fmac_f32_e32 v6, v8, v3
	v_fma_f32 v1, -v1, v6, v7
	s_delay_alu instid0(VALU_DEP_1) | instskip(NEXT) | instid1(VALU_DEP_1)
	v_div_fmas_f32 v1, v1, v3, v6
	v_div_fixup_f32 v1, v1, s12, v5
	s_wait_kmcnt 0x0
	s_delay_alu instid0(VALU_DEP_1) | instskip(NEXT) | instid1(VALU_DEP_1)
	v_add_f32_e32 v1, s0, v1
	v_mul_f32_e32 v3, 0x4b800000, v1
	v_cmp_gt_f32_e32 vcc_lo, 0x800000, v1
	s_delay_alu instid0(VALU_DEP_2) | instskip(NEXT) | instid1(VALU_DEP_1)
	v_cndmask_b32_e32 v1, v1, v3, vcc_lo
	v_rsq_f32_e32 v1, v1
	v_nop
	s_delay_alu instid0(TRANS32_DEP_1) | instskip(NEXT) | instid1(VALU_DEP_1)
	v_mul_f32_e32 v3, 0x45800000, v1
	v_dual_cndmask_b32 v1, v1, v3, vcc_lo :: v_dual_mov_b32 v3, 0
	ds_store_b32 v3, v1 offset:64
.LBB0_12:
	s_or_b32 exec_lo, exec_lo, s3
	s_wait_dscnt 0x0
	s_barrier_signal -1
	s_barrier_wait -1
	s_wait_xcnt 0x0
	s_and_saveexec_b32 s0, s2
	s_cbranch_execz .LBB0_15
; %bb.13:
	v_mov_b32_e32 v3, 0
	v_mul_lo_u32 v6, s16, v2
	s_mov_b32 s0, 0
	s_wait_kmcnt 0x0
	s_delay_alu instid0(VALU_DEP_2)
	v_mul_u64_e32 v[8:9], s[8:9], v[2:3]
	ds_load_b32 v5, v3 offset:64
	v_lshl_add_u64 v[2:3], v[8:9], 2, s[6:7]
.LBB0_14:                               ; =>This Inner Loop Header: Depth=1
	v_ashrrev_i32_e32 v1, 31, v0
	s_delay_alu instid0(VALU_DEP_1)
	v_lshl_add_u64 v[8:9], v[0:1], 2, v[2:3]
	global_load_b32 v1, v[8:9], off
	global_load_b32 v7, v0, s[10:11] scale_offset
	s_wait_xcnt 0x1
	v_add_nc_u32_e32 v8, v6, v0
	s_wait_loadcnt_dscnt 0x100
	s_wait_xcnt 0x0
	v_dual_mul_f32 v1, v1, v5 :: v_dual_add_nc_u32 v0, v0, v4
	s_delay_alu instid0(VALU_DEP_1) | instskip(SKIP_1) | instid1(VALU_DEP_2)
	v_cmp_le_i32_e32 vcc_lo, s16, v0
	s_wait_loadcnt 0x0
	v_mul_f32_e32 v1, v1, v7
	s_or_b32 s0, vcc_lo, s0
	global_store_b32 v8, v1, s[4:5] scale_offset
	s_wait_xcnt 0x0
	s_and_not1_b32 exec_lo, exec_lo, s0
	s_cbranch_execnz .LBB0_14
.LBB0_15:
	s_endpgm
	.section	.rodata,"a",@progbits
	.p2align	6, 0x0
	.amdhsa_kernel _ZN4vllm15rms_norm_kernelIfEEvPT_PKS1_lS4_fii
		.amdhsa_group_segment_fixed_size 68
		.amdhsa_private_segment_fixed_size 0
		.amdhsa_kernarg_size 304
		.amdhsa_user_sgpr_count 2
		.amdhsa_user_sgpr_dispatch_ptr 0
		.amdhsa_user_sgpr_queue_ptr 0
		.amdhsa_user_sgpr_kernarg_segment_ptr 1
		.amdhsa_user_sgpr_dispatch_id 0
		.amdhsa_user_sgpr_kernarg_preload_length 0
		.amdhsa_user_sgpr_kernarg_preload_offset 0
		.amdhsa_user_sgpr_private_segment_size 0
		.amdhsa_wavefront_size32 1
		.amdhsa_uses_dynamic_stack 0
		.amdhsa_enable_private_segment 0
		.amdhsa_system_sgpr_workgroup_id_x 1
		.amdhsa_system_sgpr_workgroup_id_y 0
		.amdhsa_system_sgpr_workgroup_id_z 0
		.amdhsa_system_sgpr_workgroup_info 0
		.amdhsa_system_vgpr_workitem_id 0
		.amdhsa_next_free_vgpr 12
		.amdhsa_next_free_sgpr 18
		.amdhsa_named_barrier_count 0
		.amdhsa_reserve_vcc 1
		.amdhsa_float_round_mode_32 0
		.amdhsa_float_round_mode_16_64 0
		.amdhsa_float_denorm_mode_32 3
		.amdhsa_float_denorm_mode_16_64 3
		.amdhsa_fp16_overflow 0
		.amdhsa_memory_ordered 1
		.amdhsa_forward_progress 1
		.amdhsa_inst_pref_size 11
		.amdhsa_round_robin_scheduling 0
		.amdhsa_exception_fp_ieee_invalid_op 0
		.amdhsa_exception_fp_denorm_src 0
		.amdhsa_exception_fp_ieee_div_zero 0
		.amdhsa_exception_fp_ieee_overflow 0
		.amdhsa_exception_fp_ieee_underflow 0
		.amdhsa_exception_fp_ieee_inexact 0
		.amdhsa_exception_int_div_zero 0
	.end_amdhsa_kernel
	.section	.text._ZN4vllm15rms_norm_kernelIfEEvPT_PKS1_lS4_fii,"axG",@progbits,_ZN4vllm15rms_norm_kernelIfEEvPT_PKS1_lS4_fii,comdat
.Lfunc_end0:
	.size	_ZN4vllm15rms_norm_kernelIfEEvPT_PKS1_lS4_fii, .Lfunc_end0-_ZN4vllm15rms_norm_kernelIfEEvPT_PKS1_lS4_fii
                                        ; -- End function
	.set _ZN4vllm15rms_norm_kernelIfEEvPT_PKS1_lS4_fii.num_vgpr, 12
	.set _ZN4vllm15rms_norm_kernelIfEEvPT_PKS1_lS4_fii.num_agpr, 0
	.set _ZN4vllm15rms_norm_kernelIfEEvPT_PKS1_lS4_fii.numbered_sgpr, 18
	.set _ZN4vllm15rms_norm_kernelIfEEvPT_PKS1_lS4_fii.num_named_barrier, 0
	.set _ZN4vllm15rms_norm_kernelIfEEvPT_PKS1_lS4_fii.private_seg_size, 0
	.set _ZN4vllm15rms_norm_kernelIfEEvPT_PKS1_lS4_fii.uses_vcc, 1
	.set _ZN4vllm15rms_norm_kernelIfEEvPT_PKS1_lS4_fii.uses_flat_scratch, 0
	.set _ZN4vllm15rms_norm_kernelIfEEvPT_PKS1_lS4_fii.has_dyn_sized_stack, 0
	.set _ZN4vllm15rms_norm_kernelIfEEvPT_PKS1_lS4_fii.has_recursion, 0
	.set _ZN4vllm15rms_norm_kernelIfEEvPT_PKS1_lS4_fii.has_indirect_call, 0
	.section	.AMDGPU.csdata,"",@progbits
; Kernel info:
; codeLenInByte = 1324
; TotalNumSgprs: 20
; NumVgprs: 12
; ScratchSize: 0
; MemoryBound: 0
; FloatMode: 240
; IeeeMode: 1
; LDSByteSize: 68 bytes/workgroup (compile time only)
; SGPRBlocks: 0
; VGPRBlocks: 0
; NumSGPRsForWavesPerEU: 20
; NumVGPRsForWavesPerEU: 12
; NamedBarCnt: 0
; Occupancy: 16
; WaveLimiterHint : 0
; COMPUTE_PGM_RSRC2:SCRATCH_EN: 0
; COMPUTE_PGM_RSRC2:USER_SGPR: 2
; COMPUTE_PGM_RSRC2:TRAP_HANDLER: 0
; COMPUTE_PGM_RSRC2:TGID_X_EN: 1
; COMPUTE_PGM_RSRC2:TGID_Y_EN: 0
; COMPUTE_PGM_RSRC2:TGID_Z_EN: 0
; COMPUTE_PGM_RSRC2:TIDIG_COMP_CNT: 0
	.section	.text._ZN4vllm15rms_norm_kernelIN3c104HalfEEEvPT_PKS3_lS6_fii,"axG",@progbits,_ZN4vllm15rms_norm_kernelIN3c104HalfEEEvPT_PKS3_lS6_fii,comdat
	.protected	_ZN4vllm15rms_norm_kernelIN3c104HalfEEEvPT_PKS3_lS6_fii ; -- Begin function _ZN4vllm15rms_norm_kernelIN3c104HalfEEEvPT_PKS3_lS6_fii
	.globl	_ZN4vllm15rms_norm_kernelIN3c104HalfEEEvPT_PKS3_lS6_fii
	.p2align	8
	.type	_ZN4vllm15rms_norm_kernelIN3c104HalfEEEvPT_PKS3_lS6_fii,@function
_ZN4vllm15rms_norm_kernelIN3c104HalfEEEvPT_PKS3_lS6_fii: ; @_ZN4vllm15rms_norm_kernelIN3c104HalfEEEvPT_PKS3_lS6_fii
; %bb.0:
	s_load_b32 s16, s[0:1], 0x28
	s_getreg_b32 s12, hwreg(HW_REG_IB_STS2, 6, 4)
	s_mov_b32 s3, exec_lo
                                        ; implicit-def: $sgpr13
                                        ; implicit-def: $sgpr14
	s_wait_kmcnt 0x0
	v_cmp_gt_i32_e64 s2, s16, v0
	v_cmpx_le_i32_e64 s16, v0
	s_xor_b32 s3, exec_lo, s3
	s_cbranch_execz .LBB1_2
; %bb.1:
	s_load_b32 s4, s[0:1], 0x3c
	s_bfe_u32 s5, ttmp6, 0x4000c
	s_and_b32 s6, ttmp6, 15
	s_add_co_i32 s5, s5, 1
	s_delay_alu instid0(SALU_CYCLE_1) | instskip(NEXT) | instid1(SALU_CYCLE_1)
	s_mul_i32 s5, ttmp9, s5
	s_add_co_i32 s6, s6, s5
	s_cmp_eq_u32 s12, 0
	s_cselect_b32 s13, ttmp9, s6
	s_wait_kmcnt 0x0
	s_and_b32 s14, s4, 0xffff
.LBB1_2:
	s_or_saveexec_b32 s3, s3
	s_load_b256 s[4:11], s[0:1], 0x0
	v_dual_mov_b32 v3, 0 :: v_dual_mov_b32 v2, s13
	v_mov_b32_e32 v4, s14
	s_xor_b32 exec_lo, exec_lo, s3
	s_cbranch_execz .LBB1_6
; %bb.3:
	s_load_b32 s17, s[0:1], 0x3c
	s_bfe_u32 s13, ttmp6, 0x4000c
	s_and_b32 s14, ttmp6, 15
	s_add_co_i32 s13, s13, 1
	v_dual_mov_b32 v3, 0 :: v_dual_mov_b32 v1, v0
	s_mul_i32 s13, ttmp9, s13
	s_delay_alu instid0(SALU_CYCLE_1)
	s_add_co_i32 s14, s14, s13
	s_cmp_eq_u32 s12, 0
	s_mov_b32 s13, 0
	s_cselect_b32 s12, ttmp9, s14
	s_wait_kmcnt 0x0
	s_mul_u64 s[14:15], s[8:9], s[12:13]
	s_delay_alu instid0(SALU_CYCLE_1) | instskip(NEXT) | instid1(SALU_CYCLE_1)
	s_lshl_b64 s[14:15], s[14:15], 1
	s_add_nc_u64 s[14:15], s[6:7], s[14:15]
	s_and_b32 s17, s17, 0xffff
.LBB1_4:                                ; =>This Inner Loop Header: Depth=1
	global_load_u16 v2, v1, s[14:15] scale_offset
	s_wait_xcnt 0x0
	v_add_nc_u32_e32 v1, s17, v1
	s_delay_alu instid0(VALU_DEP_1)
	v_cmp_le_i32_e32 vcc_lo, s16, v1
	s_or_b32 s13, vcc_lo, s13
	s_wait_loadcnt 0x0
	v_fma_mix_f32 v3, v2, v2, v3 op_sel_hi:[1,1,0]
	s_and_not1_b32 exec_lo, exec_lo, s13
	s_cbranch_execnz .LBB1_4
; %bb.5:
	s_or_b32 exec_lo, exec_lo, s13
	v_dual_mov_b32 v2, s12 :: v_dual_mov_b32 v4, s17
.LBB1_6:
	s_or_b32 exec_lo, exec_lo, s3
	v_mbcnt_lo_u32_b32 v1, -1, 0
	v_and_b32_e32 v6, 0x3c0, v0
	s_mov_b32 s3, exec_lo
	s_delay_alu instid0(VALU_DEP_2) | instskip(NEXT) | instid1(VALU_DEP_2)
	v_cmp_ne_u32_e32 vcc_lo, 63, v1
	v_sub_nc_u32_e64 v6, v4, v6 clamp
	v_add_nc_u32_e32 v8, 1, v1
	v_add_co_ci_u32_e64 v5, null, 0, v1, vcc_lo
	v_cmp_gt_u32_e32 vcc_lo, 62, v1
	s_delay_alu instid0(VALU_DEP_2)
	v_lshlrev_b32_e32 v5, 2, v5
	v_cndmask_b32_e64 v7, 0, 2, vcc_lo
	v_cmp_lt_u32_e32 vcc_lo, v8, v6
	v_add_nc_u32_e32 v8, 2, v1
	ds_bpermute_b32 v5, v5, v3
	v_add_lshl_u32 v7, v7, v1, 2
	s_wait_dscnt 0x0
	v_add_f32_e32 v5, v3, v5
	s_delay_alu instid0(VALU_DEP_1)
	v_cndmask_b32_e32 v3, v3, v5, vcc_lo
	v_cmp_gt_u32_e32 vcc_lo, 60, v1
	ds_bpermute_b32 v5, v7, v3
	v_cndmask_b32_e64 v7, 0, 4, vcc_lo
	v_cmp_lt_u32_e32 vcc_lo, v8, v6
	v_add_nc_u32_e32 v8, 4, v1
	s_delay_alu instid0(VALU_DEP_3) | instskip(SKIP_2) | instid1(VALU_DEP_1)
	v_add_lshl_u32 v7, v7, v1, 2
	s_wait_dscnt 0x0
	v_add_f32_e32 v5, v3, v5
	v_cndmask_b32_e32 v3, v3, v5, vcc_lo
	v_cmp_gt_u32_e32 vcc_lo, 56, v1
	ds_bpermute_b32 v5, v7, v3
	v_cndmask_b32_e64 v7, 0, 8, vcc_lo
	v_cmp_lt_u32_e32 vcc_lo, v8, v6
	v_add_nc_u32_e32 v8, 8, v1
	s_delay_alu instid0(VALU_DEP_3) | instskip(SKIP_2) | instid1(VALU_DEP_1)
	v_add_lshl_u32 v7, v7, v1, 2
	s_wait_dscnt 0x0
	v_add_f32_e32 v5, v3, v5
	v_cndmask_b32_e32 v3, v3, v5, vcc_lo
	v_cmp_gt_u32_e32 vcc_lo, 48, v1
	ds_bpermute_b32 v5, v7, v3
	v_cndmask_b32_e64 v7, 0, 16, vcc_lo
	v_cmp_lt_u32_e32 vcc_lo, v8, v6
	s_delay_alu instid0(VALU_DEP_2) | instskip(SKIP_2) | instid1(VALU_DEP_1)
	v_add_lshl_u32 v7, v7, v1, 2
	s_wait_dscnt 0x0
	v_add_f32_e32 v5, v3, v5
	v_cndmask_b32_e32 v5, v3, v5, vcc_lo
	ds_bpermute_b32 v3, v7, v5
	v_add_nc_u32_e32 v7, 16, v1
	s_delay_alu instid0(VALU_DEP_1) | instskip(SKIP_2) | instid1(VALU_DEP_1)
	v_cmp_lt_u32_e32 vcc_lo, v7, v6
	s_wait_dscnt 0x0
	v_dual_add_f32 v8, v5, v3 :: v_dual_lshlrev_b32 v3, 2, v1
	v_dual_cndmask_b32 v5, v5, v8, vcc_lo :: v_dual_bitop2_b32 v8, 32, v1 bitop3:0x54
	ds_bpermute_b32 v7, v3, v5 offset:128
	v_cmp_lt_u32_e32 vcc_lo, v8, v6
	s_wait_dscnt 0x0
	v_add_f32_e32 v7, v5, v7
	s_delay_alu instid0(VALU_DEP_1)
	v_cndmask_b32_e32 v5, v5, v7, vcc_lo
	v_cmpx_eq_u32_e32 0, v1
; %bb.7:
	v_lshrrev_b32_e32 v6, 4, v0
	s_delay_alu instid0(VALU_DEP_1)
	v_and_b32_e32 v6, 60, v6
	ds_store_b32 v6, v5
; %bb.8:
	s_or_b32 exec_lo, exec_lo, s3
	s_delay_alu instid0(SALU_CYCLE_1)
	s_mov_b32 s12, exec_lo
	s_wait_dscnt 0x0
	s_barrier_signal -1
	s_barrier_wait -1
	v_cmpx_gt_u32_e32 16, v0
	s_cbranch_execz .LBB1_10
; %bb.9:
	ds_load_b32 v5, v3
	v_and_b32_e32 v6, 15, v1
	v_or_b32_e32 v3, 32, v3
	s_delay_alu instid0(VALU_DEP_2) | instskip(SKIP_1) | instid1(VALU_DEP_1)
	v_cmp_ne_u32_e32 vcc_lo, 15, v6
	v_add_co_ci_u32_e64 v7, null, 0, v1, vcc_lo
	v_dual_lshlrev_b32 v7, 2, v7 :: v_dual_add_nc_u32 v8, 63, v4
	v_add_nc_u32_e32 v10, 1, v6
	v_cmp_gt_u32_e32 vcc_lo, 14, v6
	v_add_nc_u32_e32 v11, 2, v6
	s_wait_dscnt 0x0
	ds_bpermute_b32 v7, v7, v5
	v_lshrrev_b32_e32 v8, 6, v8
	v_cmp_gt_u32_e64 s3, 12, v6
	v_cndmask_b32_e64 v9, 0, 2, vcc_lo
	s_delay_alu instid0(VALU_DEP_1)
	v_add_lshl_u32 v9, v9, v1, 2
	s_wait_dscnt 0x0
	v_add_f32_e32 v7, v5, v7
	v_cmp_lt_u32_e32 vcc_lo, v10, v8
	v_cndmask_b32_e64 v10, 0, 4, s3
	v_cmp_lt_u32_e64 s3, v11, v8
	s_delay_alu instid0(VALU_DEP_4) | instskip(NEXT) | instid1(VALU_DEP_3)
	v_cndmask_b32_e32 v7, v5, v7, vcc_lo
	v_add_lshl_u32 v1, v10, v1, 2
	ds_bpermute_b32 v9, v9, v7
	s_wait_dscnt 0x0
	v_add_f32_e32 v9, v7, v9
	s_delay_alu instid0(VALU_DEP_1)
	v_dual_cndmask_b32 v7, v7, v9, s3 :: v_dual_add_nc_u32 v9, 4, v6
	v_add_nc_u32_e32 v6, 8, v6
	ds_bpermute_b32 v1, v1, v7
	v_cmp_lt_u32_e64 s3, v9, v8
	s_wait_dscnt 0x0
	v_add_f32_e32 v1, v7, v1
	s_delay_alu instid0(VALU_DEP_1) | instskip(SKIP_4) | instid1(VALU_DEP_1)
	v_cndmask_b32_e64 v1, v7, v1, s3
	v_cmp_lt_u32_e64 s3, v6, v8
	ds_bpermute_b32 v3, v3, v1
	s_wait_dscnt 0x0
	v_add_f32_e32 v3, v1, v3
	v_cndmask_b32_e64 v1, v1, v3, s3
	s_delay_alu instid0(VALU_DEP_1)
	v_cndmask_b32_e32 v5, v5, v1, vcc_lo
.LBB1_10:
	s_or_b32 exec_lo, exec_lo, s12
	s_delay_alu instid0(SALU_CYCLE_1)
	s_mov_b32 s3, exec_lo
	v_cmpx_eq_u32_e32 0, v0
	s_cbranch_execz .LBB1_12
; %bb.11:
	s_cvt_f32_i32 s12, s16
	s_wait_xcnt 0x0
	s_load_b32 s0, s[0:1], 0x20
	s_delay_alu instid0(SALU_CYCLE_1) | instskip(SKIP_1) | instid1(VALU_DEP_2)
	v_div_scale_f32 v1, null, s12, s12, v5
	v_div_scale_f32 v7, vcc_lo, v5, s12, v5
	v_rcp_f32_e32 v3, v1
	v_nop
	s_delay_alu instid0(TRANS32_DEP_1) | instskip(NEXT) | instid1(VALU_DEP_1)
	v_fma_f32 v6, -v1, v3, 1.0
	v_fmac_f32_e32 v3, v6, v3
	s_delay_alu instid0(VALU_DEP_1) | instskip(NEXT) | instid1(VALU_DEP_1)
	v_mul_f32_e32 v6, v7, v3
	v_fma_f32 v8, -v1, v6, v7
	s_delay_alu instid0(VALU_DEP_1) | instskip(NEXT) | instid1(VALU_DEP_1)
	v_fmac_f32_e32 v6, v8, v3
	v_fma_f32 v1, -v1, v6, v7
	s_delay_alu instid0(VALU_DEP_1) | instskip(NEXT) | instid1(VALU_DEP_1)
	v_div_fmas_f32 v1, v1, v3, v6
	v_div_fixup_f32 v1, v1, s12, v5
	s_wait_kmcnt 0x0
	s_delay_alu instid0(VALU_DEP_1) | instskip(NEXT) | instid1(VALU_DEP_1)
	v_add_f32_e32 v1, s0, v1
	v_mul_f32_e32 v3, 0x4b800000, v1
	v_cmp_gt_f32_e32 vcc_lo, 0x800000, v1
	s_delay_alu instid0(VALU_DEP_2) | instskip(NEXT) | instid1(VALU_DEP_1)
	v_cndmask_b32_e32 v1, v1, v3, vcc_lo
	v_rsq_f32_e32 v1, v1
	v_nop
	s_delay_alu instid0(TRANS32_DEP_1) | instskip(NEXT) | instid1(VALU_DEP_1)
	v_mul_f32_e32 v3, 0x45800000, v1
	v_dual_cndmask_b32 v1, v1, v3, vcc_lo :: v_dual_mov_b32 v3, 0
	ds_store_b32 v3, v1 offset:64
.LBB1_12:
	s_or_b32 exec_lo, exec_lo, s3
	s_wait_dscnt 0x0
	s_barrier_signal -1
	s_barrier_wait -1
	s_wait_xcnt 0x0
	s_and_saveexec_b32 s0, s2
	s_cbranch_execz .LBB1_15
; %bb.13:
	v_mov_b32_e32 v3, 0
	v_mul_lo_u32 v6, s16, v2
	s_mov_b32 s0, 0
	s_wait_kmcnt 0x0
	s_delay_alu instid0(VALU_DEP_2)
	v_mul_u64_e32 v[8:9], s[8:9], v[2:3]
	ds_load_b32 v5, v3 offset:64
	v_lshl_add_u64 v[2:3], v[8:9], 1, s[6:7]
.LBB1_14:                               ; =>This Inner Loop Header: Depth=1
	v_ashrrev_i32_e32 v1, 31, v0
	s_delay_alu instid0(VALU_DEP_1)
	v_lshl_add_u64 v[8:9], v[0:1], 1, v[2:3]
	global_load_u16 v1, v[8:9], off
	global_load_u16 v7, v0, s[10:11] scale_offset
	s_wait_xcnt 0x1
	v_add_nc_u32_e32 v8, v6, v0
	s_wait_xcnt 0x0
	v_add_nc_u32_e32 v0, v0, v4
	s_delay_alu instid0(VALU_DEP_1) | instskip(SKIP_4) | instid1(VALU_DEP_1)
	v_cmp_le_i32_e32 vcc_lo, s16, v0
	s_or_b32 s0, vcc_lo, s0
	s_wait_loadcnt_dscnt 0x100
	v_fma_mixlo_f16 v1, v5, v1, 0 op_sel_hi:[0,1,0]
	s_wait_loadcnt 0x0
	v_mul_f16_e32 v1, v7, v1
	global_store_b16 v8, v1, s[4:5] scale_offset
	s_wait_xcnt 0x0
	s_and_not1_b32 exec_lo, exec_lo, s0
	s_cbranch_execnz .LBB1_14
.LBB1_15:
	s_endpgm
	.section	.rodata,"a",@progbits
	.p2align	6, 0x0
	.amdhsa_kernel _ZN4vllm15rms_norm_kernelIN3c104HalfEEEvPT_PKS3_lS6_fii
		.amdhsa_group_segment_fixed_size 68
		.amdhsa_private_segment_fixed_size 0
		.amdhsa_kernarg_size 304
		.amdhsa_user_sgpr_count 2
		.amdhsa_user_sgpr_dispatch_ptr 0
		.amdhsa_user_sgpr_queue_ptr 0
		.amdhsa_user_sgpr_kernarg_segment_ptr 1
		.amdhsa_user_sgpr_dispatch_id 0
		.amdhsa_user_sgpr_kernarg_preload_length 0
		.amdhsa_user_sgpr_kernarg_preload_offset 0
		.amdhsa_user_sgpr_private_segment_size 0
		.amdhsa_wavefront_size32 1
		.amdhsa_uses_dynamic_stack 0
		.amdhsa_enable_private_segment 0
		.amdhsa_system_sgpr_workgroup_id_x 1
		.amdhsa_system_sgpr_workgroup_id_y 0
		.amdhsa_system_sgpr_workgroup_id_z 0
		.amdhsa_system_sgpr_workgroup_info 0
		.amdhsa_system_vgpr_workitem_id 0
		.amdhsa_next_free_vgpr 12
		.amdhsa_next_free_sgpr 18
		.amdhsa_named_barrier_count 0
		.amdhsa_reserve_vcc 1
		.amdhsa_float_round_mode_32 0
		.amdhsa_float_round_mode_16_64 0
		.amdhsa_float_denorm_mode_32 3
		.amdhsa_float_denorm_mode_16_64 3
		.amdhsa_fp16_overflow 0
		.amdhsa_memory_ordered 1
		.amdhsa_forward_progress 1
		.amdhsa_inst_pref_size 11
		.amdhsa_round_robin_scheduling 0
		.amdhsa_exception_fp_ieee_invalid_op 0
		.amdhsa_exception_fp_denorm_src 0
		.amdhsa_exception_fp_ieee_div_zero 0
		.amdhsa_exception_fp_ieee_overflow 0
		.amdhsa_exception_fp_ieee_underflow 0
		.amdhsa_exception_fp_ieee_inexact 0
		.amdhsa_exception_int_div_zero 0
	.end_amdhsa_kernel
	.section	.text._ZN4vllm15rms_norm_kernelIN3c104HalfEEEvPT_PKS3_lS6_fii,"axG",@progbits,_ZN4vllm15rms_norm_kernelIN3c104HalfEEEvPT_PKS3_lS6_fii,comdat
.Lfunc_end1:
	.size	_ZN4vllm15rms_norm_kernelIN3c104HalfEEEvPT_PKS3_lS6_fii, .Lfunc_end1-_ZN4vllm15rms_norm_kernelIN3c104HalfEEEvPT_PKS3_lS6_fii
                                        ; -- End function
	.set _ZN4vllm15rms_norm_kernelIN3c104HalfEEEvPT_PKS3_lS6_fii.num_vgpr, 12
	.set _ZN4vllm15rms_norm_kernelIN3c104HalfEEEvPT_PKS3_lS6_fii.num_agpr, 0
	.set _ZN4vllm15rms_norm_kernelIN3c104HalfEEEvPT_PKS3_lS6_fii.numbered_sgpr, 18
	.set _ZN4vllm15rms_norm_kernelIN3c104HalfEEEvPT_PKS3_lS6_fii.num_named_barrier, 0
	.set _ZN4vllm15rms_norm_kernelIN3c104HalfEEEvPT_PKS3_lS6_fii.private_seg_size, 0
	.set _ZN4vllm15rms_norm_kernelIN3c104HalfEEEvPT_PKS3_lS6_fii.uses_vcc, 1
	.set _ZN4vllm15rms_norm_kernelIN3c104HalfEEEvPT_PKS3_lS6_fii.uses_flat_scratch, 0
	.set _ZN4vllm15rms_norm_kernelIN3c104HalfEEEvPT_PKS3_lS6_fii.has_dyn_sized_stack, 0
	.set _ZN4vllm15rms_norm_kernelIN3c104HalfEEEvPT_PKS3_lS6_fii.has_recursion, 0
	.set _ZN4vllm15rms_norm_kernelIN3c104HalfEEEvPT_PKS3_lS6_fii.has_indirect_call, 0
	.section	.AMDGPU.csdata,"",@progbits
; Kernel info:
; codeLenInByte = 1332
; TotalNumSgprs: 20
; NumVgprs: 12
; ScratchSize: 0
; MemoryBound: 0
; FloatMode: 240
; IeeeMode: 1
; LDSByteSize: 68 bytes/workgroup (compile time only)
; SGPRBlocks: 0
; VGPRBlocks: 0
; NumSGPRsForWavesPerEU: 20
; NumVGPRsForWavesPerEU: 12
; NamedBarCnt: 0
; Occupancy: 16
; WaveLimiterHint : 0
; COMPUTE_PGM_RSRC2:SCRATCH_EN: 0
; COMPUTE_PGM_RSRC2:USER_SGPR: 2
; COMPUTE_PGM_RSRC2:TRAP_HANDLER: 0
; COMPUTE_PGM_RSRC2:TGID_X_EN: 1
; COMPUTE_PGM_RSRC2:TGID_Y_EN: 0
; COMPUTE_PGM_RSRC2:TGID_Z_EN: 0
; COMPUTE_PGM_RSRC2:TIDIG_COMP_CNT: 0
	.section	.text._ZN4vllm15rms_norm_kernelIN3c108BFloat16EEEvPT_PKS3_lS6_fii,"axG",@progbits,_ZN4vllm15rms_norm_kernelIN3c108BFloat16EEEvPT_PKS3_lS6_fii,comdat
	.protected	_ZN4vllm15rms_norm_kernelIN3c108BFloat16EEEvPT_PKS3_lS6_fii ; -- Begin function _ZN4vllm15rms_norm_kernelIN3c108BFloat16EEEvPT_PKS3_lS6_fii
	.globl	_ZN4vllm15rms_norm_kernelIN3c108BFloat16EEEvPT_PKS3_lS6_fii
	.p2align	8
	.type	_ZN4vllm15rms_norm_kernelIN3c108BFloat16EEEvPT_PKS3_lS6_fii,@function
_ZN4vllm15rms_norm_kernelIN3c108BFloat16EEEvPT_PKS3_lS6_fii: ; @_ZN4vllm15rms_norm_kernelIN3c108BFloat16EEEvPT_PKS3_lS6_fii
; %bb.0:
	s_load_b32 s16, s[0:1], 0x28
	s_getreg_b32 s12, hwreg(HW_REG_IB_STS2, 6, 4)
	s_mov_b32 s3, exec_lo
                                        ; implicit-def: $sgpr13
                                        ; implicit-def: $sgpr14
	s_wait_kmcnt 0x0
	v_cmp_gt_i32_e64 s2, s16, v0
	v_cmpx_le_i32_e64 s16, v0
	s_xor_b32 s3, exec_lo, s3
	s_cbranch_execz .LBB2_2
; %bb.1:
	s_load_b32 s4, s[0:1], 0x3c
	s_bfe_u32 s5, ttmp6, 0x4000c
	s_and_b32 s6, ttmp6, 15
	s_add_co_i32 s5, s5, 1
	s_delay_alu instid0(SALU_CYCLE_1) | instskip(NEXT) | instid1(SALU_CYCLE_1)
	s_mul_i32 s5, ttmp9, s5
	s_add_co_i32 s6, s6, s5
	s_cmp_eq_u32 s12, 0
	s_cselect_b32 s13, ttmp9, s6
	s_wait_kmcnt 0x0
	s_and_b32 s14, s4, 0xffff
.LBB2_2:
	s_or_saveexec_b32 s3, s3
	s_load_b256 s[4:11], s[0:1], 0x0
	v_dual_mov_b32 v3, 0 :: v_dual_mov_b32 v2, s13
	v_mov_b32_e32 v4, s14
	s_xor_b32 exec_lo, exec_lo, s3
	s_cbranch_execz .LBB2_6
; %bb.3:
	s_load_b32 s17, s[0:1], 0x3c
	s_bfe_u32 s13, ttmp6, 0x4000c
	s_and_b32 s14, ttmp6, 15
	s_add_co_i32 s13, s13, 1
	v_dual_mov_b32 v3, 0 :: v_dual_mov_b32 v1, v0
	s_mul_i32 s13, ttmp9, s13
	s_delay_alu instid0(SALU_CYCLE_1)
	s_add_co_i32 s14, s14, s13
	s_cmp_eq_u32 s12, 0
	s_mov_b32 s13, 0
	s_cselect_b32 s12, ttmp9, s14
	s_wait_kmcnt 0x0
	s_mul_u64 s[14:15], s[8:9], s[12:13]
	s_delay_alu instid0(SALU_CYCLE_1) | instskip(NEXT) | instid1(SALU_CYCLE_1)
	s_lshl_b64 s[14:15], s[14:15], 1
	s_add_nc_u64 s[14:15], s[6:7], s[14:15]
	s_and_b32 s17, s17, 0xffff
.LBB2_4:                                ; =>This Inner Loop Header: Depth=1
	global_load_u16 v2, v1, s[14:15] scale_offset
	s_wait_xcnt 0x0
	v_add_nc_u32_e32 v1, s17, v1
	s_delay_alu instid0(VALU_DEP_1)
	v_cmp_le_i32_e32 vcc_lo, s16, v1
	s_or_b32 s13, vcc_lo, s13
	s_wait_loadcnt 0x0
	v_fma_mix_f32_bf16 v3, v2, v2, v3 op_sel_hi:[1,1,0]
	s_and_not1_b32 exec_lo, exec_lo, s13
	s_cbranch_execnz .LBB2_4
; %bb.5:
	s_or_b32 exec_lo, exec_lo, s13
	v_dual_mov_b32 v2, s12 :: v_dual_mov_b32 v4, s17
.LBB2_6:
	s_or_b32 exec_lo, exec_lo, s3
	v_mbcnt_lo_u32_b32 v1, -1, 0
	v_and_b32_e32 v6, 0x3c0, v0
	s_mov_b32 s3, exec_lo
	s_delay_alu instid0(VALU_DEP_2) | instskip(NEXT) | instid1(VALU_DEP_2)
	v_cmp_ne_u32_e32 vcc_lo, 63, v1
	v_sub_nc_u32_e64 v6, v4, v6 clamp
	v_add_nc_u32_e32 v8, 1, v1
	v_add_co_ci_u32_e64 v5, null, 0, v1, vcc_lo
	v_cmp_gt_u32_e32 vcc_lo, 62, v1
	s_delay_alu instid0(VALU_DEP_2)
	v_lshlrev_b32_e32 v5, 2, v5
	v_cndmask_b32_e64 v7, 0, 2, vcc_lo
	v_cmp_lt_u32_e32 vcc_lo, v8, v6
	v_add_nc_u32_e32 v8, 2, v1
	ds_bpermute_b32 v5, v5, v3
	v_add_lshl_u32 v7, v7, v1, 2
	s_wait_dscnt 0x0
	v_add_f32_e32 v5, v3, v5
	s_delay_alu instid0(VALU_DEP_1)
	v_cndmask_b32_e32 v3, v3, v5, vcc_lo
	v_cmp_gt_u32_e32 vcc_lo, 60, v1
	ds_bpermute_b32 v5, v7, v3
	v_cndmask_b32_e64 v7, 0, 4, vcc_lo
	v_cmp_lt_u32_e32 vcc_lo, v8, v6
	v_add_nc_u32_e32 v8, 4, v1
	s_delay_alu instid0(VALU_DEP_3) | instskip(SKIP_2) | instid1(VALU_DEP_1)
	v_add_lshl_u32 v7, v7, v1, 2
	s_wait_dscnt 0x0
	v_add_f32_e32 v5, v3, v5
	v_cndmask_b32_e32 v3, v3, v5, vcc_lo
	v_cmp_gt_u32_e32 vcc_lo, 56, v1
	ds_bpermute_b32 v5, v7, v3
	v_cndmask_b32_e64 v7, 0, 8, vcc_lo
	v_cmp_lt_u32_e32 vcc_lo, v8, v6
	v_add_nc_u32_e32 v8, 8, v1
	s_delay_alu instid0(VALU_DEP_3) | instskip(SKIP_2) | instid1(VALU_DEP_1)
	v_add_lshl_u32 v7, v7, v1, 2
	s_wait_dscnt 0x0
	v_add_f32_e32 v5, v3, v5
	v_cndmask_b32_e32 v3, v3, v5, vcc_lo
	v_cmp_gt_u32_e32 vcc_lo, 48, v1
	ds_bpermute_b32 v5, v7, v3
	v_cndmask_b32_e64 v7, 0, 16, vcc_lo
	v_cmp_lt_u32_e32 vcc_lo, v8, v6
	s_delay_alu instid0(VALU_DEP_2) | instskip(SKIP_2) | instid1(VALU_DEP_1)
	v_add_lshl_u32 v7, v7, v1, 2
	s_wait_dscnt 0x0
	v_add_f32_e32 v5, v3, v5
	v_cndmask_b32_e32 v5, v3, v5, vcc_lo
	ds_bpermute_b32 v3, v7, v5
	v_add_nc_u32_e32 v7, 16, v1
	s_delay_alu instid0(VALU_DEP_1) | instskip(SKIP_2) | instid1(VALU_DEP_1)
	v_cmp_lt_u32_e32 vcc_lo, v7, v6
	s_wait_dscnt 0x0
	v_dual_add_f32 v8, v5, v3 :: v_dual_lshlrev_b32 v3, 2, v1
	v_dual_cndmask_b32 v5, v5, v8, vcc_lo :: v_dual_bitop2_b32 v8, 32, v1 bitop3:0x54
	ds_bpermute_b32 v7, v3, v5 offset:128
	v_cmp_lt_u32_e32 vcc_lo, v8, v6
	s_wait_dscnt 0x0
	v_add_f32_e32 v7, v5, v7
	s_delay_alu instid0(VALU_DEP_1)
	v_cndmask_b32_e32 v5, v5, v7, vcc_lo
	v_cmpx_eq_u32_e32 0, v1
; %bb.7:
	v_lshrrev_b32_e32 v6, 4, v0
	s_delay_alu instid0(VALU_DEP_1)
	v_and_b32_e32 v6, 60, v6
	ds_store_b32 v6, v5
; %bb.8:
	s_or_b32 exec_lo, exec_lo, s3
	s_delay_alu instid0(SALU_CYCLE_1)
	s_mov_b32 s12, exec_lo
	s_wait_dscnt 0x0
	s_barrier_signal -1
	s_barrier_wait -1
	v_cmpx_gt_u32_e32 16, v0
	s_cbranch_execz .LBB2_10
; %bb.9:
	ds_load_b32 v5, v3
	v_and_b32_e32 v6, 15, v1
	v_or_b32_e32 v3, 32, v3
	s_delay_alu instid0(VALU_DEP_2) | instskip(SKIP_1) | instid1(VALU_DEP_1)
	v_cmp_ne_u32_e32 vcc_lo, 15, v6
	v_add_co_ci_u32_e64 v7, null, 0, v1, vcc_lo
	v_dual_lshlrev_b32 v7, 2, v7 :: v_dual_add_nc_u32 v8, 63, v4
	v_add_nc_u32_e32 v10, 1, v6
	v_cmp_gt_u32_e32 vcc_lo, 14, v6
	v_add_nc_u32_e32 v11, 2, v6
	s_wait_dscnt 0x0
	ds_bpermute_b32 v7, v7, v5
	v_lshrrev_b32_e32 v8, 6, v8
	v_cmp_gt_u32_e64 s3, 12, v6
	v_cndmask_b32_e64 v9, 0, 2, vcc_lo
	s_delay_alu instid0(VALU_DEP_1)
	v_add_lshl_u32 v9, v9, v1, 2
	s_wait_dscnt 0x0
	v_add_f32_e32 v7, v5, v7
	v_cmp_lt_u32_e32 vcc_lo, v10, v8
	v_cndmask_b32_e64 v10, 0, 4, s3
	v_cmp_lt_u32_e64 s3, v11, v8
	s_delay_alu instid0(VALU_DEP_4) | instskip(NEXT) | instid1(VALU_DEP_3)
	v_cndmask_b32_e32 v7, v5, v7, vcc_lo
	v_add_lshl_u32 v1, v10, v1, 2
	ds_bpermute_b32 v9, v9, v7
	s_wait_dscnt 0x0
	v_add_f32_e32 v9, v7, v9
	s_delay_alu instid0(VALU_DEP_1)
	v_dual_cndmask_b32 v7, v7, v9, s3 :: v_dual_add_nc_u32 v9, 4, v6
	v_add_nc_u32_e32 v6, 8, v6
	ds_bpermute_b32 v1, v1, v7
	v_cmp_lt_u32_e64 s3, v9, v8
	s_wait_dscnt 0x0
	v_add_f32_e32 v1, v7, v1
	s_delay_alu instid0(VALU_DEP_1) | instskip(SKIP_4) | instid1(VALU_DEP_1)
	v_cndmask_b32_e64 v1, v7, v1, s3
	v_cmp_lt_u32_e64 s3, v6, v8
	ds_bpermute_b32 v3, v3, v1
	s_wait_dscnt 0x0
	v_add_f32_e32 v3, v1, v3
	v_cndmask_b32_e64 v1, v1, v3, s3
	s_delay_alu instid0(VALU_DEP_1)
	v_cndmask_b32_e32 v5, v5, v1, vcc_lo
.LBB2_10:
	s_or_b32 exec_lo, exec_lo, s12
	s_delay_alu instid0(SALU_CYCLE_1)
	s_mov_b32 s3, exec_lo
	v_cmpx_eq_u32_e32 0, v0
	s_cbranch_execz .LBB2_12
; %bb.11:
	s_cvt_f32_i32 s12, s16
	s_wait_xcnt 0x0
	s_load_b32 s0, s[0:1], 0x20
	s_delay_alu instid0(SALU_CYCLE_1) | instskip(SKIP_1) | instid1(VALU_DEP_2)
	v_div_scale_f32 v1, null, s12, s12, v5
	v_div_scale_f32 v7, vcc_lo, v5, s12, v5
	v_rcp_f32_e32 v3, v1
	v_nop
	s_delay_alu instid0(TRANS32_DEP_1) | instskip(NEXT) | instid1(VALU_DEP_1)
	v_fma_f32 v6, -v1, v3, 1.0
	v_fmac_f32_e32 v3, v6, v3
	s_delay_alu instid0(VALU_DEP_1) | instskip(NEXT) | instid1(VALU_DEP_1)
	v_mul_f32_e32 v6, v7, v3
	v_fma_f32 v8, -v1, v6, v7
	s_delay_alu instid0(VALU_DEP_1) | instskip(NEXT) | instid1(VALU_DEP_1)
	v_fmac_f32_e32 v6, v8, v3
	v_fma_f32 v1, -v1, v6, v7
	s_delay_alu instid0(VALU_DEP_1) | instskip(NEXT) | instid1(VALU_DEP_1)
	v_div_fmas_f32 v1, v1, v3, v6
	v_div_fixup_f32 v1, v1, s12, v5
	s_wait_kmcnt 0x0
	s_delay_alu instid0(VALU_DEP_1) | instskip(NEXT) | instid1(VALU_DEP_1)
	v_add_f32_e32 v1, s0, v1
	v_mul_f32_e32 v3, 0x4b800000, v1
	v_cmp_gt_f32_e32 vcc_lo, 0x800000, v1
	s_delay_alu instid0(VALU_DEP_2) | instskip(NEXT) | instid1(VALU_DEP_1)
	v_cndmask_b32_e32 v1, v1, v3, vcc_lo
	v_rsq_f32_e32 v1, v1
	v_nop
	s_delay_alu instid0(TRANS32_DEP_1) | instskip(NEXT) | instid1(VALU_DEP_1)
	v_mul_f32_e32 v3, 0x45800000, v1
	v_dual_cndmask_b32 v1, v1, v3, vcc_lo :: v_dual_mov_b32 v3, 0
	ds_store_b32 v3, v1 offset:64
.LBB2_12:
	s_or_b32 exec_lo, exec_lo, s3
	s_wait_dscnt 0x0
	s_barrier_signal -1
	s_barrier_wait -1
	s_wait_xcnt 0x0
	s_and_saveexec_b32 s0, s2
	s_cbranch_execz .LBB2_15
; %bb.13:
	v_mov_b32_e32 v3, 0
	v_mul_lo_u32 v6, s16, v2
	s_mov_b32 s1, 0
	s_wait_kmcnt 0x0
	s_delay_alu instid0(VALU_DEP_2)
	v_mul_u64_e32 v[8:9], s[8:9], v[2:3]
	ds_load_b32 v5, v3 offset:64
	v_lshl_add_u64 v[2:3], v[8:9], 1, s[6:7]
.LBB2_14:                               ; =>This Inner Loop Header: Depth=1
	v_ashrrev_i32_e32 v1, 31, v0
	s_delay_alu instid0(VALU_DEP_1)
	v_lshl_add_u64 v[8:9], v[0:1], 1, v[2:3]
	global_load_u16 v1, v[8:9], off
	global_load_u16 v7, v0, s[10:11] scale_offset
	s_wait_loadcnt 0x0
	v_dual_lshlrev_b32 v1, 16, v1 :: v_dual_lshlrev_b32 v7, 16, v7
	s_wait_dscnt 0x0
	s_delay_alu instid0(VALU_DEP_1) | instskip(SKIP_1) | instid1(VALU_DEP_1)
	v_mul_f32_e32 v1, v5, v1
	s_wait_xcnt 0x1
	v_bfe_u32 v8, v1, 16, 1
	v_cmp_o_f32_e32 vcc_lo, v1, v1
	s_delay_alu instid0(VALU_DEP_2) | instskip(NEXT) | instid1(VALU_DEP_1)
	v_add3_u32 v8, v1, v8, 0x7fff
	v_and_b32_e32 v8, 0xffff0000, v8
	s_delay_alu instid0(VALU_DEP_1) | instskip(SKIP_2) | instid1(VALU_DEP_2)
	v_cndmask_b32_e32 v1, 0x7fc00000, v8, vcc_lo
	v_add_nc_u32_e32 v8, v6, v0
	s_wait_xcnt 0x0
	v_dual_mul_f32 v1, v1, v7 :: v_dual_add_nc_u32 v0, v0, v4
	s_delay_alu instid0(VALU_DEP_1) | instskip(NEXT) | instid1(VALU_DEP_2)
	v_cmp_le_i32_e32 vcc_lo, s16, v0
	v_bfe_u32 v7, v1, 16, 1
	s_or_b32 s1, vcc_lo, s1
	s_delay_alu instid0(VALU_DEP_1) | instskip(NEXT) | instid1(VALU_DEP_1)
	v_add3_u32 v7, v1, v7, 0x7fff
	v_lshrrev_b32_e32 v7, 16, v7
	v_cmp_o_f32_e64 s0, v1, v1
	s_delay_alu instid0(VALU_DEP_1)
	v_cndmask_b32_e64 v1, 0x7fc0, v7, s0
	global_store_b16 v8, v1, s[4:5] scale_offset
	s_wait_xcnt 0x0
	s_and_not1_b32 exec_lo, exec_lo, s1
	s_cbranch_execnz .LBB2_14
.LBB2_15:
	s_endpgm
	.section	.rodata,"a",@progbits
	.p2align	6, 0x0
	.amdhsa_kernel _ZN4vllm15rms_norm_kernelIN3c108BFloat16EEEvPT_PKS3_lS6_fii
		.amdhsa_group_segment_fixed_size 68
		.amdhsa_private_segment_fixed_size 0
		.amdhsa_kernarg_size 304
		.amdhsa_user_sgpr_count 2
		.amdhsa_user_sgpr_dispatch_ptr 0
		.amdhsa_user_sgpr_queue_ptr 0
		.amdhsa_user_sgpr_kernarg_segment_ptr 1
		.amdhsa_user_sgpr_dispatch_id 0
		.amdhsa_user_sgpr_kernarg_preload_length 0
		.amdhsa_user_sgpr_kernarg_preload_offset 0
		.amdhsa_user_sgpr_private_segment_size 0
		.amdhsa_wavefront_size32 1
		.amdhsa_uses_dynamic_stack 0
		.amdhsa_enable_private_segment 0
		.amdhsa_system_sgpr_workgroup_id_x 1
		.amdhsa_system_sgpr_workgroup_id_y 0
		.amdhsa_system_sgpr_workgroup_id_z 0
		.amdhsa_system_sgpr_workgroup_info 0
		.amdhsa_system_vgpr_workitem_id 0
		.amdhsa_next_free_vgpr 12
		.amdhsa_next_free_sgpr 18
		.amdhsa_named_barrier_count 0
		.amdhsa_reserve_vcc 1
		.amdhsa_float_round_mode_32 0
		.amdhsa_float_round_mode_16_64 0
		.amdhsa_float_denorm_mode_32 3
		.amdhsa_float_denorm_mode_16_64 3
		.amdhsa_fp16_overflow 0
		.amdhsa_memory_ordered 1
		.amdhsa_forward_progress 1
		.amdhsa_inst_pref_size 12
		.amdhsa_round_robin_scheduling 0
		.amdhsa_exception_fp_ieee_invalid_op 0
		.amdhsa_exception_fp_denorm_src 0
		.amdhsa_exception_fp_ieee_div_zero 0
		.amdhsa_exception_fp_ieee_overflow 0
		.amdhsa_exception_fp_ieee_underflow 0
		.amdhsa_exception_fp_ieee_inexact 0
		.amdhsa_exception_int_div_zero 0
	.end_amdhsa_kernel
	.section	.text._ZN4vllm15rms_norm_kernelIN3c108BFloat16EEEvPT_PKS3_lS6_fii,"axG",@progbits,_ZN4vllm15rms_norm_kernelIN3c108BFloat16EEEvPT_PKS3_lS6_fii,comdat
.Lfunc_end2:
	.size	_ZN4vllm15rms_norm_kernelIN3c108BFloat16EEEvPT_PKS3_lS6_fii, .Lfunc_end2-_ZN4vllm15rms_norm_kernelIN3c108BFloat16EEEvPT_PKS3_lS6_fii
                                        ; -- End function
	.set _ZN4vllm15rms_norm_kernelIN3c108BFloat16EEEvPT_PKS3_lS6_fii.num_vgpr, 12
	.set _ZN4vllm15rms_norm_kernelIN3c108BFloat16EEEvPT_PKS3_lS6_fii.num_agpr, 0
	.set _ZN4vllm15rms_norm_kernelIN3c108BFloat16EEEvPT_PKS3_lS6_fii.numbered_sgpr, 18
	.set _ZN4vllm15rms_norm_kernelIN3c108BFloat16EEEvPT_PKS3_lS6_fii.num_named_barrier, 0
	.set _ZN4vllm15rms_norm_kernelIN3c108BFloat16EEEvPT_PKS3_lS6_fii.private_seg_size, 0
	.set _ZN4vllm15rms_norm_kernelIN3c108BFloat16EEEvPT_PKS3_lS6_fii.uses_vcc, 1
	.set _ZN4vllm15rms_norm_kernelIN3c108BFloat16EEEvPT_PKS3_lS6_fii.uses_flat_scratch, 0
	.set _ZN4vllm15rms_norm_kernelIN3c108BFloat16EEEvPT_PKS3_lS6_fii.has_dyn_sized_stack, 0
	.set _ZN4vllm15rms_norm_kernelIN3c108BFloat16EEEvPT_PKS3_lS6_fii.has_recursion, 0
	.set _ZN4vllm15rms_norm_kernelIN3c108BFloat16EEEvPT_PKS3_lS6_fii.has_indirect_call, 0
	.section	.AMDGPU.csdata,"",@progbits
; Kernel info:
; codeLenInByte = 1444
; TotalNumSgprs: 20
; NumVgprs: 12
; ScratchSize: 0
; MemoryBound: 0
; FloatMode: 240
; IeeeMode: 1
; LDSByteSize: 68 bytes/workgroup (compile time only)
; SGPRBlocks: 0
; VGPRBlocks: 0
; NumSGPRsForWavesPerEU: 20
; NumVGPRsForWavesPerEU: 12
; NamedBarCnt: 0
; Occupancy: 16
; WaveLimiterHint : 0
; COMPUTE_PGM_RSRC2:SCRATCH_EN: 0
; COMPUTE_PGM_RSRC2:USER_SGPR: 2
; COMPUTE_PGM_RSRC2:TRAP_HANDLER: 0
; COMPUTE_PGM_RSRC2:TGID_X_EN: 1
; COMPUTE_PGM_RSRC2:TGID_Y_EN: 0
; COMPUTE_PGM_RSRC2:TGID_Z_EN: 0
; COMPUTE_PGM_RSRC2:TIDIG_COMP_CNT: 0
	.section	.text._ZN4vllm25fused_add_rms_norm_kernelIfLi8EEENSt9enable_ifIXooeqT0_Li0Entsr12_typeConvertIT_EE6existsEvE4typeEPS2_lS5_PKS2_fii,"axG",@progbits,_ZN4vllm25fused_add_rms_norm_kernelIfLi8EEENSt9enable_ifIXooeqT0_Li0Entsr12_typeConvertIT_EE6existsEvE4typeEPS2_lS5_PKS2_fii,comdat
	.protected	_ZN4vllm25fused_add_rms_norm_kernelIfLi8EEENSt9enable_ifIXooeqT0_Li0Entsr12_typeConvertIT_EE6existsEvE4typeEPS2_lS5_PKS2_fii ; -- Begin function _ZN4vllm25fused_add_rms_norm_kernelIfLi8EEENSt9enable_ifIXooeqT0_Li0Entsr12_typeConvertIT_EE6existsEvE4typeEPS2_lS5_PKS2_fii
	.globl	_ZN4vllm25fused_add_rms_norm_kernelIfLi8EEENSt9enable_ifIXooeqT0_Li0Entsr12_typeConvertIT_EE6existsEvE4typeEPS2_lS5_PKS2_fii
	.p2align	8
	.type	_ZN4vllm25fused_add_rms_norm_kernelIfLi8EEENSt9enable_ifIXooeqT0_Li0Entsr12_typeConvertIT_EE6existsEvE4typeEPS2_lS5_PKS2_fii,@function
_ZN4vllm25fused_add_rms_norm_kernelIfLi8EEENSt9enable_ifIXooeqT0_Li0Entsr12_typeConvertIT_EE6existsEvE4typeEPS2_lS5_PKS2_fii: ; @_ZN4vllm25fused_add_rms_norm_kernelIfLi8EEENSt9enable_ifIXooeqT0_Li0Entsr12_typeConvertIT_EE6existsEvE4typeEPS2_lS5_PKS2_fii
; %bb.0:
	s_clause 0x1
	s_load_b32 s16, s[0:1], 0x28
	s_load_b64 s[8:9], s[0:1], 0x10
	s_getreg_b32 s12, hwreg(HW_REG_IB_STS2, 6, 4)
	s_mov_b32 s3, exec_lo
                                        ; implicit-def: $sgpr13
                                        ; implicit-def: $sgpr14
	s_wait_kmcnt 0x0
	v_cmp_gt_i32_e64 s2, s16, v0
	v_cmpx_le_i32_e64 s16, v0
	s_xor_b32 s3, exec_lo, s3
	s_cbranch_execz .LBB3_2
; %bb.1:
	s_load_b32 s4, s[0:1], 0x3c
	s_bfe_u32 s5, ttmp6, 0x4000c
	s_and_b32 s6, ttmp6, 15
	s_add_co_i32 s5, s5, 1
	s_delay_alu instid0(SALU_CYCLE_1) | instskip(NEXT) | instid1(SALU_CYCLE_1)
	s_mul_i32 s5, ttmp9, s5
	s_add_co_i32 s6, s6, s5
	s_cmp_eq_u32 s12, 0
	s_cselect_b32 s13, ttmp9, s6
	s_wait_kmcnt 0x0
	s_and_b32 s14, s4, 0xffff
.LBB3_2:
	s_or_saveexec_b32 s3, s3
	s_clause 0x1
	s_load_b64 s[10:11], s[0:1], 0x18
	s_load_b128 s[4:7], s[0:1], 0x0
	v_dual_mov_b32 v3, 0 :: v_dual_mov_b32 v2, s13
	v_mov_b32_e32 v4, s14
	s_xor_b32 exec_lo, exec_lo, s3
	s_cbranch_execz .LBB3_6
; %bb.3:
	s_load_b32 s17, s[0:1], 0x3c
	s_bfe_u32 s13, ttmp6, 0x4000c
	s_and_b32 s14, ttmp6, 15
	s_add_co_i32 s13, s13, 1
	v_dual_mov_b32 v3, 0 :: v_dual_mov_b32 v1, v0
	s_mul_i32 s13, ttmp9, s13
	s_delay_alu instid0(SALU_CYCLE_1)
	s_add_co_i32 s14, s14, s13
	s_cmp_eq_u32 s12, 0
	s_mov_b32 s13, 0
	s_cselect_b32 s12, ttmp9, s14
	s_wait_kmcnt 0x0
	s_mul_u64 s[14:15], s[6:7], s[12:13]
	s_mul_i32 s18, s16, s12
	s_lshl_b64 s[14:15], s[14:15], 2
	s_delay_alu instid0(SALU_CYCLE_1)
	s_add_nc_u64 s[14:15], s[4:5], s[14:15]
	s_and_b32 s17, s17, 0xffff
.LBB3_4:                                ; =>This Inner Loop Header: Depth=1
	v_add_nc_u32_e32 v2, s18, v1
	global_load_b32 v4, v1, s[14:15] scale_offset
	global_load_b32 v5, v2, s[8:9] scale_offset
	s_wait_xcnt 0x1
	v_add_nc_u32_e32 v1, s17, v1
	s_delay_alu instid0(VALU_DEP_1) | instskip(SKIP_3) | instid1(VALU_DEP_1)
	v_cmp_le_i32_e32 vcc_lo, s16, v1
	s_or_b32 s13, vcc_lo, s13
	s_wait_loadcnt 0x0
	v_add_f32_e32 v4, v4, v5
	v_fmac_f32_e32 v3, v4, v4
	global_store_b32 v2, v4, s[8:9] scale_offset
	s_wait_xcnt 0x0
	s_and_not1_b32 exec_lo, exec_lo, s13
	s_cbranch_execnz .LBB3_4
; %bb.5:
	s_or_b32 exec_lo, exec_lo, s13
	v_dual_mov_b32 v2, s12 :: v_dual_mov_b32 v4, s17
.LBB3_6:
	s_or_b32 exec_lo, exec_lo, s3
	v_mbcnt_lo_u32_b32 v1, -1, 0
	v_and_b32_e32 v6, 0x3c0, v0
	s_mov_b32 s3, exec_lo
	s_delay_alu instid0(VALU_DEP_2) | instskip(NEXT) | instid1(VALU_DEP_2)
	v_cmp_ne_u32_e32 vcc_lo, 63, v1
	v_sub_nc_u32_e64 v6, v4, v6 clamp
	v_add_nc_u32_e32 v8, 1, v1
	v_add_co_ci_u32_e64 v5, null, 0, v1, vcc_lo
	v_cmp_gt_u32_e32 vcc_lo, 62, v1
	s_delay_alu instid0(VALU_DEP_2)
	v_lshlrev_b32_e32 v5, 2, v5
	v_cndmask_b32_e64 v7, 0, 2, vcc_lo
	v_cmp_lt_u32_e32 vcc_lo, v8, v6
	v_add_nc_u32_e32 v8, 2, v1
	ds_bpermute_b32 v5, v5, v3
	v_add_lshl_u32 v7, v7, v1, 2
	s_wait_dscnt 0x0
	v_add_f32_e32 v5, v3, v5
	s_delay_alu instid0(VALU_DEP_1)
	v_cndmask_b32_e32 v3, v3, v5, vcc_lo
	v_cmp_gt_u32_e32 vcc_lo, 60, v1
	ds_bpermute_b32 v5, v7, v3
	v_cndmask_b32_e64 v7, 0, 4, vcc_lo
	v_cmp_lt_u32_e32 vcc_lo, v8, v6
	v_add_nc_u32_e32 v8, 4, v1
	s_delay_alu instid0(VALU_DEP_3) | instskip(SKIP_2) | instid1(VALU_DEP_1)
	v_add_lshl_u32 v7, v7, v1, 2
	s_wait_dscnt 0x0
	v_add_f32_e32 v5, v3, v5
	v_cndmask_b32_e32 v3, v3, v5, vcc_lo
	v_cmp_gt_u32_e32 vcc_lo, 56, v1
	ds_bpermute_b32 v5, v7, v3
	v_cndmask_b32_e64 v7, 0, 8, vcc_lo
	v_cmp_lt_u32_e32 vcc_lo, v8, v6
	v_add_nc_u32_e32 v8, 8, v1
	s_delay_alu instid0(VALU_DEP_3) | instskip(SKIP_2) | instid1(VALU_DEP_1)
	v_add_lshl_u32 v7, v7, v1, 2
	s_wait_dscnt 0x0
	v_add_f32_e32 v5, v3, v5
	v_cndmask_b32_e32 v3, v3, v5, vcc_lo
	v_cmp_gt_u32_e32 vcc_lo, 48, v1
	ds_bpermute_b32 v5, v7, v3
	v_cndmask_b32_e64 v7, 0, 16, vcc_lo
	v_cmp_lt_u32_e32 vcc_lo, v8, v6
	s_delay_alu instid0(VALU_DEP_2) | instskip(SKIP_2) | instid1(VALU_DEP_1)
	v_add_lshl_u32 v7, v7, v1, 2
	s_wait_dscnt 0x0
	v_add_f32_e32 v5, v3, v5
	v_cndmask_b32_e32 v5, v3, v5, vcc_lo
	ds_bpermute_b32 v3, v7, v5
	v_add_nc_u32_e32 v7, 16, v1
	s_delay_alu instid0(VALU_DEP_1) | instskip(SKIP_2) | instid1(VALU_DEP_1)
	v_cmp_lt_u32_e32 vcc_lo, v7, v6
	s_wait_dscnt 0x0
	v_dual_add_f32 v8, v5, v3 :: v_dual_lshlrev_b32 v3, 2, v1
	v_dual_cndmask_b32 v5, v5, v8, vcc_lo :: v_dual_bitop2_b32 v8, 32, v1 bitop3:0x54
	ds_bpermute_b32 v7, v3, v5 offset:128
	v_cmp_lt_u32_e32 vcc_lo, v8, v6
	s_wait_dscnt 0x0
	v_add_f32_e32 v7, v5, v7
	s_delay_alu instid0(VALU_DEP_1)
	v_cndmask_b32_e32 v5, v5, v7, vcc_lo
	v_cmpx_eq_u32_e32 0, v1
; %bb.7:
	v_lshrrev_b32_e32 v6, 4, v0
	s_delay_alu instid0(VALU_DEP_1)
	v_and_b32_e32 v6, 60, v6
	ds_store_b32 v6, v5
; %bb.8:
	s_or_b32 exec_lo, exec_lo, s3
	s_delay_alu instid0(SALU_CYCLE_1)
	s_mov_b32 s12, exec_lo
	s_wait_storecnt_dscnt 0x0
	s_barrier_signal -1
	s_barrier_wait -1
	v_cmpx_gt_u32_e32 16, v0
	s_cbranch_execz .LBB3_10
; %bb.9:
	ds_load_b32 v5, v3
	v_and_b32_e32 v6, 15, v1
	v_or_b32_e32 v3, 32, v3
	s_delay_alu instid0(VALU_DEP_2) | instskip(SKIP_1) | instid1(VALU_DEP_1)
	v_cmp_ne_u32_e32 vcc_lo, 15, v6
	v_add_co_ci_u32_e64 v7, null, 0, v1, vcc_lo
	v_dual_lshlrev_b32 v7, 2, v7 :: v_dual_add_nc_u32 v8, 63, v4
	v_add_nc_u32_e32 v10, 1, v6
	v_cmp_gt_u32_e32 vcc_lo, 14, v6
	v_add_nc_u32_e32 v11, 2, v6
	s_wait_dscnt 0x0
	ds_bpermute_b32 v7, v7, v5
	v_lshrrev_b32_e32 v8, 6, v8
	v_cmp_gt_u32_e64 s3, 12, v6
	v_cndmask_b32_e64 v9, 0, 2, vcc_lo
	s_delay_alu instid0(VALU_DEP_1)
	v_add_lshl_u32 v9, v9, v1, 2
	s_wait_dscnt 0x0
	v_add_f32_e32 v7, v5, v7
	v_cmp_lt_u32_e32 vcc_lo, v10, v8
	v_cndmask_b32_e64 v10, 0, 4, s3
	v_cmp_lt_u32_e64 s3, v11, v8
	s_delay_alu instid0(VALU_DEP_4) | instskip(NEXT) | instid1(VALU_DEP_3)
	v_cndmask_b32_e32 v7, v5, v7, vcc_lo
	v_add_lshl_u32 v1, v10, v1, 2
	ds_bpermute_b32 v9, v9, v7
	s_wait_dscnt 0x0
	v_add_f32_e32 v9, v7, v9
	s_delay_alu instid0(VALU_DEP_1)
	v_dual_cndmask_b32 v7, v7, v9, s3 :: v_dual_add_nc_u32 v9, 4, v6
	v_add_nc_u32_e32 v6, 8, v6
	ds_bpermute_b32 v1, v1, v7
	v_cmp_lt_u32_e64 s3, v9, v8
	s_wait_dscnt 0x0
	v_add_f32_e32 v1, v7, v1
	s_delay_alu instid0(VALU_DEP_1) | instskip(SKIP_4) | instid1(VALU_DEP_1)
	v_cndmask_b32_e64 v1, v7, v1, s3
	v_cmp_lt_u32_e64 s3, v6, v8
	ds_bpermute_b32 v3, v3, v1
	s_wait_dscnt 0x0
	v_add_f32_e32 v3, v1, v3
	v_cndmask_b32_e64 v1, v1, v3, s3
	s_delay_alu instid0(VALU_DEP_1)
	v_cndmask_b32_e32 v5, v5, v1, vcc_lo
.LBB3_10:
	s_or_b32 exec_lo, exec_lo, s12
	s_delay_alu instid0(SALU_CYCLE_1)
	s_mov_b32 s3, exec_lo
	v_cmpx_eq_u32_e32 0, v0
	s_cbranch_execz .LBB3_12
; %bb.11:
	s_cvt_f32_i32 s12, s16
	s_wait_xcnt 0x0
	s_load_b32 s0, s[0:1], 0x20
	s_delay_alu instid0(SALU_CYCLE_1) | instskip(SKIP_1) | instid1(VALU_DEP_2)
	v_div_scale_f32 v1, null, s12, s12, v5
	v_div_scale_f32 v7, vcc_lo, v5, s12, v5
	v_rcp_f32_e32 v3, v1
	v_nop
	s_delay_alu instid0(TRANS32_DEP_1) | instskip(NEXT) | instid1(VALU_DEP_1)
	v_fma_f32 v6, -v1, v3, 1.0
	v_fmac_f32_e32 v3, v6, v3
	s_delay_alu instid0(VALU_DEP_1) | instskip(NEXT) | instid1(VALU_DEP_1)
	v_mul_f32_e32 v6, v7, v3
	v_fma_f32 v8, -v1, v6, v7
	s_delay_alu instid0(VALU_DEP_1) | instskip(NEXT) | instid1(VALU_DEP_1)
	v_fmac_f32_e32 v6, v8, v3
	v_fma_f32 v1, -v1, v6, v7
	s_delay_alu instid0(VALU_DEP_1) | instskip(NEXT) | instid1(VALU_DEP_1)
	v_div_fmas_f32 v1, v1, v3, v6
	v_div_fixup_f32 v1, v1, s12, v5
	s_wait_kmcnt 0x0
	s_delay_alu instid0(VALU_DEP_1) | instskip(NEXT) | instid1(VALU_DEP_1)
	v_add_f32_e32 v1, s0, v1
	v_mul_f32_e32 v3, 0x4b800000, v1
	v_cmp_gt_f32_e32 vcc_lo, 0x800000, v1
	s_delay_alu instid0(VALU_DEP_2) | instskip(NEXT) | instid1(VALU_DEP_1)
	v_cndmask_b32_e32 v1, v1, v3, vcc_lo
	v_rsq_f32_e32 v1, v1
	v_nop
	s_delay_alu instid0(TRANS32_DEP_1) | instskip(NEXT) | instid1(VALU_DEP_1)
	v_mul_f32_e32 v3, 0x45800000, v1
	v_dual_cndmask_b32 v1, v1, v3, vcc_lo :: v_dual_mov_b32 v3, 0
	ds_store_b32 v3, v1 offset:64
.LBB3_12:
	s_or_b32 exec_lo, exec_lo, s3
	s_wait_dscnt 0x0
	s_barrier_signal -1
	s_barrier_wait -1
	s_wait_xcnt 0x0
	s_and_saveexec_b32 s0, s2
	s_cbranch_execz .LBB3_15
; %bb.13:
	v_mov_b32_e32 v3, 0
	v_mul_lo_u32 v6, s16, v2
	s_mov_b32 s0, 0
	s_wait_kmcnt 0x0
	s_delay_alu instid0(VALU_DEP_2)
	v_mul_u64_e32 v[8:9], s[6:7], v[2:3]
	ds_load_b32 v5, v3 offset:64
	v_lshl_add_u64 v[2:3], v[8:9], 2, s[4:5]
.LBB3_14:                               ; =>This Inner Loop Header: Depth=1
	v_add_nc_u32_e32 v1, v6, v0
	global_load_b32 v7, v1, s[8:9] scale_offset
	global_load_b32 v10, v0, s[10:11] scale_offset
	s_wait_xcnt 0x1
	v_ashrrev_i32_e32 v1, 31, v0
	s_delay_alu instid0(VALU_DEP_1) | instskip(SKIP_3) | instid1(VALU_DEP_1)
	v_lshl_add_u64 v[8:9], v[0:1], 2, v[2:3]
	s_wait_loadcnt_dscnt 0x100
	s_wait_xcnt 0x0
	v_dual_mul_f32 v1, v7, v5 :: v_dual_add_nc_u32 v0, v0, v4
	v_cmp_le_i32_e32 vcc_lo, s16, v0
	s_wait_loadcnt 0x0
	s_delay_alu instid0(VALU_DEP_2)
	v_mul_f32_e32 v1, v1, v10
	s_or_b32 s0, vcc_lo, s0
	global_store_b32 v[8:9], v1, off
	s_wait_xcnt 0x0
	s_and_not1_b32 exec_lo, exec_lo, s0
	s_cbranch_execnz .LBB3_14
.LBB3_15:
	s_endpgm
	.section	.rodata,"a",@progbits
	.p2align	6, 0x0
	.amdhsa_kernel _ZN4vllm25fused_add_rms_norm_kernelIfLi8EEENSt9enable_ifIXooeqT0_Li0Entsr12_typeConvertIT_EE6existsEvE4typeEPS2_lS5_PKS2_fii
		.amdhsa_group_segment_fixed_size 68
		.amdhsa_private_segment_fixed_size 0
		.amdhsa_kernarg_size 304
		.amdhsa_user_sgpr_count 2
		.amdhsa_user_sgpr_dispatch_ptr 0
		.amdhsa_user_sgpr_queue_ptr 0
		.amdhsa_user_sgpr_kernarg_segment_ptr 1
		.amdhsa_user_sgpr_dispatch_id 0
		.amdhsa_user_sgpr_kernarg_preload_length 0
		.amdhsa_user_sgpr_kernarg_preload_offset 0
		.amdhsa_user_sgpr_private_segment_size 0
		.amdhsa_wavefront_size32 1
		.amdhsa_uses_dynamic_stack 0
		.amdhsa_enable_private_segment 0
		.amdhsa_system_sgpr_workgroup_id_x 1
		.amdhsa_system_sgpr_workgroup_id_y 0
		.amdhsa_system_sgpr_workgroup_id_z 0
		.amdhsa_system_sgpr_workgroup_info 0
		.amdhsa_system_vgpr_workitem_id 0
		.amdhsa_next_free_vgpr 12
		.amdhsa_next_free_sgpr 19
		.amdhsa_named_barrier_count 0
		.amdhsa_reserve_vcc 1
		.amdhsa_float_round_mode_32 0
		.amdhsa_float_round_mode_16_64 0
		.amdhsa_float_denorm_mode_32 3
		.amdhsa_float_denorm_mode_16_64 3
		.amdhsa_fp16_overflow 0
		.amdhsa_memory_ordered 1
		.amdhsa_forward_progress 1
		.amdhsa_inst_pref_size 11
		.amdhsa_round_robin_scheduling 0
		.amdhsa_exception_fp_ieee_invalid_op 0
		.amdhsa_exception_fp_denorm_src 0
		.amdhsa_exception_fp_ieee_div_zero 0
		.amdhsa_exception_fp_ieee_overflow 0
		.amdhsa_exception_fp_ieee_underflow 0
		.amdhsa_exception_fp_ieee_inexact 0
		.amdhsa_exception_int_div_zero 0
	.end_amdhsa_kernel
	.section	.text._ZN4vllm25fused_add_rms_norm_kernelIfLi8EEENSt9enable_ifIXooeqT0_Li0Entsr12_typeConvertIT_EE6existsEvE4typeEPS2_lS5_PKS2_fii,"axG",@progbits,_ZN4vllm25fused_add_rms_norm_kernelIfLi8EEENSt9enable_ifIXooeqT0_Li0Entsr12_typeConvertIT_EE6existsEvE4typeEPS2_lS5_PKS2_fii,comdat
.Lfunc_end3:
	.size	_ZN4vllm25fused_add_rms_norm_kernelIfLi8EEENSt9enable_ifIXooeqT0_Li0Entsr12_typeConvertIT_EE6existsEvE4typeEPS2_lS5_PKS2_fii, .Lfunc_end3-_ZN4vllm25fused_add_rms_norm_kernelIfLi8EEENSt9enable_ifIXooeqT0_Li0Entsr12_typeConvertIT_EE6existsEvE4typeEPS2_lS5_PKS2_fii
                                        ; -- End function
	.set _ZN4vllm25fused_add_rms_norm_kernelIfLi8EEENSt9enable_ifIXooeqT0_Li0Entsr12_typeConvertIT_EE6existsEvE4typeEPS2_lS5_PKS2_fii.num_vgpr, 12
	.set _ZN4vllm25fused_add_rms_norm_kernelIfLi8EEENSt9enable_ifIXooeqT0_Li0Entsr12_typeConvertIT_EE6existsEvE4typeEPS2_lS5_PKS2_fii.num_agpr, 0
	.set _ZN4vllm25fused_add_rms_norm_kernelIfLi8EEENSt9enable_ifIXooeqT0_Li0Entsr12_typeConvertIT_EE6existsEvE4typeEPS2_lS5_PKS2_fii.numbered_sgpr, 19
	.set _ZN4vllm25fused_add_rms_norm_kernelIfLi8EEENSt9enable_ifIXooeqT0_Li0Entsr12_typeConvertIT_EE6existsEvE4typeEPS2_lS5_PKS2_fii.num_named_barrier, 0
	.set _ZN4vllm25fused_add_rms_norm_kernelIfLi8EEENSt9enable_ifIXooeqT0_Li0Entsr12_typeConvertIT_EE6existsEvE4typeEPS2_lS5_PKS2_fii.private_seg_size, 0
	.set _ZN4vllm25fused_add_rms_norm_kernelIfLi8EEENSt9enable_ifIXooeqT0_Li0Entsr12_typeConvertIT_EE6existsEvE4typeEPS2_lS5_PKS2_fii.uses_vcc, 1
	.set _ZN4vllm25fused_add_rms_norm_kernelIfLi8EEENSt9enable_ifIXooeqT0_Li0Entsr12_typeConvertIT_EE6existsEvE4typeEPS2_lS5_PKS2_fii.uses_flat_scratch, 0
	.set _ZN4vllm25fused_add_rms_norm_kernelIfLi8EEENSt9enable_ifIXooeqT0_Li0Entsr12_typeConvertIT_EE6existsEvE4typeEPS2_lS5_PKS2_fii.has_dyn_sized_stack, 0
	.set _ZN4vllm25fused_add_rms_norm_kernelIfLi8EEENSt9enable_ifIXooeqT0_Li0Entsr12_typeConvertIT_EE6existsEvE4typeEPS2_lS5_PKS2_fii.has_recursion, 0
	.set _ZN4vllm25fused_add_rms_norm_kernelIfLi8EEENSt9enable_ifIXooeqT0_Li0Entsr12_typeConvertIT_EE6existsEvE4typeEPS2_lS5_PKS2_fii.has_indirect_call, 0
	.section	.AMDGPU.csdata,"",@progbits
; Kernel info:
; codeLenInByte = 1388
; TotalNumSgprs: 21
; NumVgprs: 12
; ScratchSize: 0
; MemoryBound: 0
; FloatMode: 240
; IeeeMode: 1
; LDSByteSize: 68 bytes/workgroup (compile time only)
; SGPRBlocks: 0
; VGPRBlocks: 0
; NumSGPRsForWavesPerEU: 21
; NumVGPRsForWavesPerEU: 12
; NamedBarCnt: 0
; Occupancy: 16
; WaveLimiterHint : 0
; COMPUTE_PGM_RSRC2:SCRATCH_EN: 0
; COMPUTE_PGM_RSRC2:USER_SGPR: 2
; COMPUTE_PGM_RSRC2:TRAP_HANDLER: 0
; COMPUTE_PGM_RSRC2:TGID_X_EN: 1
; COMPUTE_PGM_RSRC2:TGID_Y_EN: 0
; COMPUTE_PGM_RSRC2:TGID_Z_EN: 0
; COMPUTE_PGM_RSRC2:TIDIG_COMP_CNT: 0
	.section	.text._ZN4vllm25fused_add_rms_norm_kernelIN3c104HalfELi8EEENSt9enable_ifIXaagtT0_Li0Esr12_typeConvertIT_EE6existsEvE4typeEPS4_lS7_PKS4_fii,"axG",@progbits,_ZN4vllm25fused_add_rms_norm_kernelIN3c104HalfELi8EEENSt9enable_ifIXaagtT0_Li0Esr12_typeConvertIT_EE6existsEvE4typeEPS4_lS7_PKS4_fii,comdat
	.protected	_ZN4vllm25fused_add_rms_norm_kernelIN3c104HalfELi8EEENSt9enable_ifIXaagtT0_Li0Esr12_typeConvertIT_EE6existsEvE4typeEPS4_lS7_PKS4_fii ; -- Begin function _ZN4vllm25fused_add_rms_norm_kernelIN3c104HalfELi8EEENSt9enable_ifIXaagtT0_Li0Esr12_typeConvertIT_EE6existsEvE4typeEPS4_lS7_PKS4_fii
	.globl	_ZN4vllm25fused_add_rms_norm_kernelIN3c104HalfELi8EEENSt9enable_ifIXaagtT0_Li0Esr12_typeConvertIT_EE6existsEvE4typeEPS4_lS7_PKS4_fii
	.p2align	8
	.type	_ZN4vllm25fused_add_rms_norm_kernelIN3c104HalfELi8EEENSt9enable_ifIXaagtT0_Li0Esr12_typeConvertIT_EE6existsEvE4typeEPS4_lS7_PKS4_fii,@function
_ZN4vllm25fused_add_rms_norm_kernelIN3c104HalfELi8EEENSt9enable_ifIXaagtT0_Li0Esr12_typeConvertIT_EE6existsEvE4typeEPS4_lS7_PKS4_fii: ; @_ZN4vllm25fused_add_rms_norm_kernelIN3c104HalfELi8EEENSt9enable_ifIXaagtT0_Li0Esr12_typeConvertIT_EE6existsEvE4typeEPS4_lS7_PKS4_fii
; %bb.0:
	s_clause 0x1
	s_load_b32 s17, s[0:1], 0x28
	s_load_b128 s[4:7], s[0:1], 0x8
	s_mov_b32 s9, 0
	s_getreg_b32 s12, hwreg(HW_REG_IB_STS2, 6, 4)
                                        ; implicit-def: $sgpr13
                                        ; implicit-def: $sgpr14
	s_wait_kmcnt 0x0
	s_ashr_i32 s2, s17, 31
	s_ashr_i32 s3, s5, 31
	s_lshr_b32 s2, s2, 29
	s_lshr_b32 s8, s3, 29
	s_add_co_i32 s2, s17, s2
	s_add_nc_u64 s[10:11], s[4:5], s[8:9]
	s_ashr_i32 s16, s2, 3
	s_mov_b32 s3, exec_lo
	v_cmp_gt_i32_e64 s2, s16, v0
	v_cmpx_le_i32_e64 s16, v0
	s_xor_b32 s3, exec_lo, s3
	s_cbranch_execz .LBB4_2
; %bb.1:
	s_load_b32 s4, s[0:1], 0x3c
	s_bfe_u32 s5, ttmp6, 0x4000c
	s_and_b32 s8, ttmp6, 15
	s_add_co_i32 s5, s5, 1
	s_delay_alu instid0(SALU_CYCLE_1) | instskip(NEXT) | instid1(SALU_CYCLE_1)
	s_mul_i32 s5, ttmp9, s5
	s_add_co_i32 s8, s8, s5
	s_cmp_eq_u32 s12, 0
	s_cselect_b32 s13, ttmp9, s8
	s_wait_kmcnt 0x0
	s_and_b32 s14, s4, 0xffff
.LBB4_2:
	s_or_saveexec_b32 s3, s3
	s_clause 0x1
	s_load_b64 s[4:5], s[0:1], 0x18
	s_load_b64 s[8:9], s[0:1], 0x0
	v_dual_mov_b32 v3, 0 :: v_dual_mov_b32 v6, s13
	v_dual_mov_b32 v4, s14 :: v_dual_lshlrev_b32 v2, 4, v0
	s_ashr_i64 s[10:11], s[10:11], 3
	s_xor_b32 exec_lo, exec_lo, s3
	s_cbranch_execz .LBB4_6
; %bb.3:
	s_bfe_u32 s13, ttmp6, 0x4000c
	s_and_b32 s14, ttmp6, 15
	s_add_co_i32 s13, s13, 1
	s_load_b32 s18, s[0:1], 0x3c
	s_mul_i32 s13, ttmp9, s13
	v_dual_mov_b32 v3, 0 :: v_dual_mov_b32 v1, v0
	s_add_co_i32 s14, s14, s13
	s_cmp_eq_u32 s12, 0
	s_mov_b32 s13, 0
	s_cselect_b32 s12, ttmp9, s14
	s_delay_alu instid0(SALU_CYCLE_1) | instskip(SKIP_4) | instid1(SALU_CYCLE_1)
	s_mul_u64 s[14:15], s[10:11], s[12:13]
	s_mul_i32 s19, s16, s12
	s_lshl_b64 s[14:15], s[14:15], 4
	s_wait_kmcnt 0x0
	s_add_nc_u64 s[14:15], s[8:9], s[14:15]
	v_add_nc_u64_e32 v[4:5], s[14:15], v[2:3]
	s_mov_b32 s15, s13
	s_and_b32 s18, s18, 0xffff
	s_delay_alu instid0(VALU_DEP_1)
	v_add_nc_u64_e32 v[4:5], 8, v[4:5]
	s_lshl_b32 s14, s18, 4
.LBB4_4:                                ; =>This Inner Loop Header: Depth=1
	v_add_nc_u32_e32 v18, s19, v1
	global_load_b128 v[6:9], v[4:5], off offset:-8
	global_load_b128 v[10:13], v18, s[6:7] scale_offset
	s_wait_xcnt 0x1
	v_add_nc_u64_e32 v[4:5], s[14:15], v[4:5]
	v_add_nc_u32_e32 v1, s18, v1
	s_delay_alu instid0(VALU_DEP_1)
	v_cmp_le_i32_e32 vcc_lo, s16, v1
	s_or_b32 s13, vcc_lo, s13
	s_wait_loadcnt 0x0
	v_pk_add_f16 v7, v7, v11
	v_pk_add_f16 v6, v6, v10
	;; [unrolled: 1-line block ×4, first 2 shown]
	s_delay_alu instid0(VALU_DEP_3) | instskip(NEXT) | instid1(VALU_DEP_3)
	v_dual_lshrrev_b32 v10, 16, v7 :: v_dual_lshrrev_b32 v12, 16, v6
	v_lshrrev_b32_e32 v14, 16, v9
	v_cvt_f32_f16_e32 v13, v7
	v_cvt_f32_f16_e32 v17, v9
	s_delay_alu instid0(VALU_DEP_4)
	v_cvt_f32_f16_e32 v11, v10
	v_cvt_f32_f16_e32 v10, v12
	;; [unrolled: 1-line block ×4, first 2 shown]
	global_store_b128 v18, v[6:9], s[6:7] scale_offset
	v_pk_mul_f32 v[10:11], v[10:11], v[10:11]
	s_delay_alu instid0(VALU_DEP_1) | instskip(NEXT) | instid1(VALU_DEP_1)
	v_pk_fma_f32 v[10:11], v[12:13], v[12:13], v[10:11]
	v_dual_lshrrev_b32 v16, 16, v8 :: v_dual_add_f32 v10, v10, v11
	s_delay_alu instid0(VALU_DEP_1) | instskip(SKIP_1) | instid1(VALU_DEP_2)
	v_cvt_f32_f16_e32 v14, v16
	v_cvt_f32_f16_e32 v16, v8
	v_pk_mul_f32 v[14:15], v[14:15], v[14:15]
	s_delay_alu instid0(VALU_DEP_1) | instskip(NEXT) | instid1(VALU_DEP_1)
	v_pk_fma_f32 v[12:13], v[16:17], v[16:17], v[14:15]
	v_add_f32_e32 v10, v10, v12
	s_delay_alu instid0(VALU_DEP_1) | instskip(NEXT) | instid1(VALU_DEP_1)
	v_add_f32_e32 v10, v10, v13
	v_add_f32_e32 v3, v3, v10
	s_wait_xcnt 0x0
	s_and_not1_b32 exec_lo, exec_lo, s13
	s_cbranch_execnz .LBB4_4
; %bb.5:
	s_or_b32 exec_lo, exec_lo, s13
	v_dual_mov_b32 v6, s12 :: v_dual_mov_b32 v4, s18
.LBB4_6:
	s_or_b32 exec_lo, exec_lo, s3
	v_mbcnt_lo_u32_b32 v1, -1, 0
	v_and_b32_e32 v7, 0x3c0, v0
	s_mov_b32 s3, exec_lo
	s_delay_alu instid0(VALU_DEP_2) | instskip(NEXT) | instid1(VALU_DEP_2)
	v_cmp_ne_u32_e32 vcc_lo, 63, v1
	v_sub_nc_u32_e64 v7, v4, v7 clamp
	v_add_nc_u32_e32 v9, 1, v1
	v_add_co_ci_u32_e64 v5, null, 0, v1, vcc_lo
	v_cmp_gt_u32_e32 vcc_lo, 62, v1
	s_delay_alu instid0(VALU_DEP_2)
	v_lshlrev_b32_e32 v5, 2, v5
	v_cndmask_b32_e64 v8, 0, 2, vcc_lo
	v_cmp_lt_u32_e32 vcc_lo, v9, v7
	v_add_nc_u32_e32 v9, 2, v1
	ds_bpermute_b32 v5, v5, v3
	v_add_lshl_u32 v8, v8, v1, 2
	s_wait_dscnt 0x0
	v_add_f32_e32 v5, v3, v5
	s_delay_alu instid0(VALU_DEP_1)
	v_cndmask_b32_e32 v3, v3, v5, vcc_lo
	v_cmp_gt_u32_e32 vcc_lo, 60, v1
	ds_bpermute_b32 v5, v8, v3
	v_cndmask_b32_e64 v8, 0, 4, vcc_lo
	v_cmp_lt_u32_e32 vcc_lo, v9, v7
	v_add_nc_u32_e32 v9, 4, v1
	s_delay_alu instid0(VALU_DEP_3) | instskip(SKIP_2) | instid1(VALU_DEP_1)
	v_add_lshl_u32 v8, v8, v1, 2
	s_wait_dscnt 0x0
	v_add_f32_e32 v5, v3, v5
	v_cndmask_b32_e32 v3, v3, v5, vcc_lo
	v_cmp_gt_u32_e32 vcc_lo, 56, v1
	ds_bpermute_b32 v5, v8, v3
	v_cndmask_b32_e64 v8, 0, 8, vcc_lo
	v_cmp_lt_u32_e32 vcc_lo, v9, v7
	v_add_nc_u32_e32 v9, 8, v1
	s_delay_alu instid0(VALU_DEP_3) | instskip(SKIP_2) | instid1(VALU_DEP_1)
	v_add_lshl_u32 v8, v8, v1, 2
	s_wait_dscnt 0x0
	v_add_f32_e32 v5, v3, v5
	v_cndmask_b32_e32 v3, v3, v5, vcc_lo
	v_cmp_gt_u32_e32 vcc_lo, 48, v1
	ds_bpermute_b32 v5, v8, v3
	v_cndmask_b32_e64 v8, 0, 16, vcc_lo
	v_cmp_lt_u32_e32 vcc_lo, v9, v7
	s_delay_alu instid0(VALU_DEP_2) | instskip(SKIP_2) | instid1(VALU_DEP_1)
	v_add_lshl_u32 v8, v8, v1, 2
	s_wait_dscnt 0x0
	v_add_f32_e32 v5, v3, v5
	v_cndmask_b32_e32 v5, v3, v5, vcc_lo
	ds_bpermute_b32 v3, v8, v5
	v_add_nc_u32_e32 v8, 16, v1
	s_delay_alu instid0(VALU_DEP_1) | instskip(SKIP_2) | instid1(VALU_DEP_1)
	v_cmp_lt_u32_e32 vcc_lo, v8, v7
	s_wait_dscnt 0x0
	v_dual_add_f32 v9, v5, v3 :: v_dual_lshlrev_b32 v3, 2, v1
	v_cndmask_b32_e32 v5, v5, v9, vcc_lo
	v_or_b32_e32 v9, 32, v1
	ds_bpermute_b32 v8, v3, v5 offset:128
	v_cmp_lt_u32_e32 vcc_lo, v9, v7
	s_wait_dscnt 0x0
	v_add_f32_e32 v8, v5, v8
	s_delay_alu instid0(VALU_DEP_1)
	v_cndmask_b32_e32 v5, v5, v8, vcc_lo
	v_cmpx_eq_u32_e32 0, v1
; %bb.7:
	v_lshrrev_b32_e32 v7, 4, v0
	s_delay_alu instid0(VALU_DEP_1)
	v_and_b32_e32 v7, 60, v7
	ds_store_b32 v7, v5
; %bb.8:
	s_or_b32 exec_lo, exec_lo, s3
	s_delay_alu instid0(SALU_CYCLE_1)
	s_mov_b32 s12, exec_lo
	s_wait_storecnt_dscnt 0x0
	s_barrier_signal -1
	s_barrier_wait -1
	v_cmpx_gt_u32_e32 16, v0
	s_cbranch_execz .LBB4_10
; %bb.9:
	ds_load_b32 v5, v3
	v_and_b32_e32 v7, 15, v1
	v_or_b32_e32 v3, 32, v3
	s_delay_alu instid0(VALU_DEP_2) | instskip(SKIP_1) | instid1(VALU_DEP_1)
	v_cmp_ne_u32_e32 vcc_lo, 15, v7
	v_add_co_ci_u32_e64 v8, null, 0, v1, vcc_lo
	v_lshlrev_b32_e32 v8, 2, v8
	v_dual_add_nc_u32 v9, 63, v4 :: v_dual_add_nc_u32 v11, 1, v7
	v_cmp_gt_u32_e32 vcc_lo, 14, v7
	v_add_nc_u32_e32 v12, 2, v7
	s_wait_dscnt 0x0
	ds_bpermute_b32 v8, v8, v5
	v_lshrrev_b32_e32 v9, 6, v9
	v_cmp_gt_u32_e64 s3, 12, v7
	v_cndmask_b32_e64 v10, 0, 2, vcc_lo
	s_delay_alu instid0(VALU_DEP_1)
	v_add_lshl_u32 v10, v10, v1, 2
	s_wait_dscnt 0x0
	v_add_f32_e32 v8, v5, v8
	v_cmp_lt_u32_e32 vcc_lo, v11, v9
	v_cndmask_b32_e64 v11, 0, 4, s3
	v_cmp_lt_u32_e64 s3, v12, v9
	s_delay_alu instid0(VALU_DEP_4) | instskip(NEXT) | instid1(VALU_DEP_3)
	v_cndmask_b32_e32 v8, v5, v8, vcc_lo
	v_add_lshl_u32 v1, v11, v1, 2
	ds_bpermute_b32 v10, v10, v8
	s_wait_dscnt 0x0
	v_add_f32_e32 v10, v8, v10
	s_delay_alu instid0(VALU_DEP_1)
	v_dual_cndmask_b32 v8, v8, v10, s3 :: v_dual_add_nc_u32 v10, 4, v7
	v_add_nc_u32_e32 v7, 8, v7
	ds_bpermute_b32 v1, v1, v8
	v_cmp_lt_u32_e64 s3, v10, v9
	s_wait_dscnt 0x0
	v_add_f32_e32 v1, v8, v1
	s_delay_alu instid0(VALU_DEP_1) | instskip(SKIP_4) | instid1(VALU_DEP_1)
	v_cndmask_b32_e64 v1, v8, v1, s3
	v_cmp_lt_u32_e64 s3, v7, v9
	ds_bpermute_b32 v3, v3, v1
	s_wait_dscnt 0x0
	v_add_f32_e32 v3, v1, v3
	v_cndmask_b32_e64 v1, v1, v3, s3
	s_delay_alu instid0(VALU_DEP_1)
	v_cndmask_b32_e32 v5, v5, v1, vcc_lo
.LBB4_10:
	s_or_b32 exec_lo, exec_lo, s12
	s_delay_alu instid0(SALU_CYCLE_1)
	s_mov_b32 s3, exec_lo
	v_cmpx_eq_u32_e32 0, v0
	s_cbranch_execz .LBB4_12
; %bb.11:
	s_cvt_f32_i32 s12, s17
	s_wait_xcnt 0x0
	s_load_b32 s0, s[0:1], 0x20
	s_delay_alu instid0(SALU_CYCLE_1) | instskip(SKIP_1) | instid1(VALU_DEP_2)
	v_div_scale_f32 v1, null, s12, s12, v5
	v_div_scale_f32 v8, vcc_lo, v5, s12, v5
	v_rcp_f32_e32 v3, v1
	v_nop
	s_delay_alu instid0(TRANS32_DEP_1) | instskip(NEXT) | instid1(VALU_DEP_1)
	v_fma_f32 v7, -v1, v3, 1.0
	v_fmac_f32_e32 v3, v7, v3
	s_delay_alu instid0(VALU_DEP_1) | instskip(NEXT) | instid1(VALU_DEP_1)
	v_mul_f32_e32 v7, v8, v3
	v_fma_f32 v9, -v1, v7, v8
	s_delay_alu instid0(VALU_DEP_1) | instskip(NEXT) | instid1(VALU_DEP_1)
	v_fmac_f32_e32 v7, v9, v3
	v_fma_f32 v1, -v1, v7, v8
	s_delay_alu instid0(VALU_DEP_1) | instskip(NEXT) | instid1(VALU_DEP_1)
	v_div_fmas_f32 v1, v1, v3, v7
	v_div_fixup_f32 v1, v1, s12, v5
	s_wait_kmcnt 0x0
	s_delay_alu instid0(VALU_DEP_1) | instskip(NEXT) | instid1(VALU_DEP_1)
	v_add_f32_e32 v1, s0, v1
	v_mul_f32_e32 v3, 0x4b800000, v1
	v_cmp_gt_f32_e32 vcc_lo, 0x800000, v1
	s_delay_alu instid0(VALU_DEP_2) | instskip(NEXT) | instid1(VALU_DEP_1)
	v_cndmask_b32_e32 v1, v1, v3, vcc_lo
	v_rsq_f32_e32 v1, v1
	v_nop
	s_delay_alu instid0(TRANS32_DEP_1) | instskip(NEXT) | instid1(VALU_DEP_1)
	v_mul_f32_e32 v3, 0x45800000, v1
	v_dual_cndmask_b32 v1, v1, v3, vcc_lo :: v_dual_mov_b32 v3, 0
	ds_store_b32 v3, v1 offset:64
.LBB4_12:
	s_or_b32 exec_lo, exec_lo, s3
	s_wait_dscnt 0x0
	s_barrier_signal -1
	s_barrier_wait -1
	s_wait_xcnt 0x0
	s_and_saveexec_b32 s0, s2
	s_cbranch_execz .LBB4_15
; %bb.13:
	v_mov_b32_e32 v7, 0
	v_mul_lo_u32 v1, s16, v6
	s_wait_kmcnt 0x0
	v_mov_b64_e32 v[12:13], s[4:5]
	s_mov_b32 s0, 0
	ds_load_b32 v8, v7 offset:64
	s_wait_dscnt 0x0
	v_mov_b32_e32 v9, v8
	v_mul_u64_e32 v[10:11], s[10:11], v[6:7]
	v_dual_mov_b32 v5, v7 :: v_dual_mov_b32 v3, v7
	s_delay_alu instid0(VALU_DEP_1) | instskip(NEXT) | instid1(VALU_DEP_3)
	v_lshlrev_b64_e32 v[6:7], 4, v[4:5]
	v_lshl_add_u64 v[10:11], v[10:11], 4, s[8:9]
.LBB4_14:                               ; =>This Inner Loop Header: Depth=1
	v_add_nc_u32_e32 v5, v1, v0
	s_delay_alu instid0(VALU_DEP_4) | instskip(NEXT) | instid1(VALU_DEP_3)
	v_add_nc_u64_e32 v[18:19], v[12:13], v[2:3]
	v_add_nc_u64_e32 v[22:23], v[10:11], v[2:3]
	;; [unrolled: 1-line block ×4, first 2 shown]
	global_load_b128 v[14:17], v5, s[6:7] scale_offset
	v_add_nc_u32_e32 v0, v0, v4
	global_load_b128 v[18:21], v[18:19], off
	s_wait_loadcnt 0x1
	v_cvt_f32_f16_e32 v24, v14
	s_wait_xcnt 0x1
	v_lshrrev_b32_e32 v5, 16, v14
	v_cvt_f32_f16_e32 v14, v15
	v_dual_lshrrev_b32 v15, 16, v15 :: v_dual_lshrrev_b32 v27, 16, v16
	v_lshrrev_b32_e32 v28, 16, v17
	v_cvt_f32_f16_e32 v26, v16
	v_cvt_f32_f16_e32 v16, v17
	v_cvt_f32_f16_e32 v25, v5
	v_cvt_f32_f16_e32 v15, v15
	v_cvt_f32_f16_e32 v27, v27
	v_cvt_f32_f16_e32 v17, v28
	v_cmp_le_i32_e32 vcc_lo, s16, v0
	v_pk_mul_f32 v[24:25], v[8:9], v[24:25]
	v_pk_mul_f32 v[14:15], v[8:9], v[14:15]
	;; [unrolled: 1-line block ×4, first 2 shown]
	s_or_b32 s0, vcc_lo, s0
	v_cvt_pk_f16_f32 v5, v24, v25
	v_cvt_pk_f16_f32 v15, v14, v15
	;; [unrolled: 1-line block ×4, first 2 shown]
	s_wait_loadcnt 0x0
	v_pk_mul_f16 v14, v18, v5
	v_pk_mul_f16 v15, v19, v15
	;; [unrolled: 1-line block ×4, first 2 shown]
	global_store_b128 v[22:23], v[14:17], off
	s_wait_xcnt 0x0
	s_and_not1_b32 exec_lo, exec_lo, s0
	s_cbranch_execnz .LBB4_14
.LBB4_15:
	s_endpgm
	.section	.rodata,"a",@progbits
	.p2align	6, 0x0
	.amdhsa_kernel _ZN4vllm25fused_add_rms_norm_kernelIN3c104HalfELi8EEENSt9enable_ifIXaagtT0_Li0Esr12_typeConvertIT_EE6existsEvE4typeEPS4_lS7_PKS4_fii
		.amdhsa_group_segment_fixed_size 68
		.amdhsa_private_segment_fixed_size 0
		.amdhsa_kernarg_size 304
		.amdhsa_user_sgpr_count 2
		.amdhsa_user_sgpr_dispatch_ptr 0
		.amdhsa_user_sgpr_queue_ptr 0
		.amdhsa_user_sgpr_kernarg_segment_ptr 1
		.amdhsa_user_sgpr_dispatch_id 0
		.amdhsa_user_sgpr_kernarg_preload_length 0
		.amdhsa_user_sgpr_kernarg_preload_offset 0
		.amdhsa_user_sgpr_private_segment_size 0
		.amdhsa_wavefront_size32 1
		.amdhsa_uses_dynamic_stack 0
		.amdhsa_enable_private_segment 0
		.amdhsa_system_sgpr_workgroup_id_x 1
		.amdhsa_system_sgpr_workgroup_id_y 0
		.amdhsa_system_sgpr_workgroup_id_z 0
		.amdhsa_system_sgpr_workgroup_info 0
		.amdhsa_system_vgpr_workitem_id 0
		.amdhsa_next_free_vgpr 29
		.amdhsa_next_free_sgpr 20
		.amdhsa_named_barrier_count 0
		.amdhsa_reserve_vcc 1
		.amdhsa_float_round_mode_32 0
		.amdhsa_float_round_mode_16_64 0
		.amdhsa_float_denorm_mode_32 3
		.amdhsa_float_denorm_mode_16_64 3
		.amdhsa_fp16_overflow 0
		.amdhsa_memory_ordered 1
		.amdhsa_forward_progress 1
		.amdhsa_inst_pref_size 14
		.amdhsa_round_robin_scheduling 0
		.amdhsa_exception_fp_ieee_invalid_op 0
		.amdhsa_exception_fp_denorm_src 0
		.amdhsa_exception_fp_ieee_div_zero 0
		.amdhsa_exception_fp_ieee_overflow 0
		.amdhsa_exception_fp_ieee_underflow 0
		.amdhsa_exception_fp_ieee_inexact 0
		.amdhsa_exception_int_div_zero 0
	.end_amdhsa_kernel
	.section	.text._ZN4vllm25fused_add_rms_norm_kernelIN3c104HalfELi8EEENSt9enable_ifIXaagtT0_Li0Esr12_typeConvertIT_EE6existsEvE4typeEPS4_lS7_PKS4_fii,"axG",@progbits,_ZN4vllm25fused_add_rms_norm_kernelIN3c104HalfELi8EEENSt9enable_ifIXaagtT0_Li0Esr12_typeConvertIT_EE6existsEvE4typeEPS4_lS7_PKS4_fii,comdat
.Lfunc_end4:
	.size	_ZN4vllm25fused_add_rms_norm_kernelIN3c104HalfELi8EEENSt9enable_ifIXaagtT0_Li0Esr12_typeConvertIT_EE6existsEvE4typeEPS4_lS7_PKS4_fii, .Lfunc_end4-_ZN4vllm25fused_add_rms_norm_kernelIN3c104HalfELi8EEENSt9enable_ifIXaagtT0_Li0Esr12_typeConvertIT_EE6existsEvE4typeEPS4_lS7_PKS4_fii
                                        ; -- End function
	.set _ZN4vllm25fused_add_rms_norm_kernelIN3c104HalfELi8EEENSt9enable_ifIXaagtT0_Li0Esr12_typeConvertIT_EE6existsEvE4typeEPS4_lS7_PKS4_fii.num_vgpr, 29
	.set _ZN4vllm25fused_add_rms_norm_kernelIN3c104HalfELi8EEENSt9enable_ifIXaagtT0_Li0Esr12_typeConvertIT_EE6existsEvE4typeEPS4_lS7_PKS4_fii.num_agpr, 0
	.set _ZN4vllm25fused_add_rms_norm_kernelIN3c104HalfELi8EEENSt9enable_ifIXaagtT0_Li0Esr12_typeConvertIT_EE6existsEvE4typeEPS4_lS7_PKS4_fii.numbered_sgpr, 20
	.set _ZN4vllm25fused_add_rms_norm_kernelIN3c104HalfELi8EEENSt9enable_ifIXaagtT0_Li0Esr12_typeConvertIT_EE6existsEvE4typeEPS4_lS7_PKS4_fii.num_named_barrier, 0
	.set _ZN4vllm25fused_add_rms_norm_kernelIN3c104HalfELi8EEENSt9enable_ifIXaagtT0_Li0Esr12_typeConvertIT_EE6existsEvE4typeEPS4_lS7_PKS4_fii.private_seg_size, 0
	.set _ZN4vllm25fused_add_rms_norm_kernelIN3c104HalfELi8EEENSt9enable_ifIXaagtT0_Li0Esr12_typeConvertIT_EE6existsEvE4typeEPS4_lS7_PKS4_fii.uses_vcc, 1
	.set _ZN4vllm25fused_add_rms_norm_kernelIN3c104HalfELi8EEENSt9enable_ifIXaagtT0_Li0Esr12_typeConvertIT_EE6existsEvE4typeEPS4_lS7_PKS4_fii.uses_flat_scratch, 0
	.set _ZN4vllm25fused_add_rms_norm_kernelIN3c104HalfELi8EEENSt9enable_ifIXaagtT0_Li0Esr12_typeConvertIT_EE6existsEvE4typeEPS4_lS7_PKS4_fii.has_dyn_sized_stack, 0
	.set _ZN4vllm25fused_add_rms_norm_kernelIN3c104HalfELi8EEENSt9enable_ifIXaagtT0_Li0Esr12_typeConvertIT_EE6existsEvE4typeEPS4_lS7_PKS4_fii.has_recursion, 0
	.set _ZN4vllm25fused_add_rms_norm_kernelIN3c104HalfELi8EEENSt9enable_ifIXaagtT0_Li0Esr12_typeConvertIT_EE6existsEvE4typeEPS4_lS7_PKS4_fii.has_indirect_call, 0
	.section	.AMDGPU.csdata,"",@progbits
; Kernel info:
; codeLenInByte = 1768
; TotalNumSgprs: 22
; NumVgprs: 29
; ScratchSize: 0
; MemoryBound: 0
; FloatMode: 240
; IeeeMode: 1
; LDSByteSize: 68 bytes/workgroup (compile time only)
; SGPRBlocks: 0
; VGPRBlocks: 1
; NumSGPRsForWavesPerEU: 22
; NumVGPRsForWavesPerEU: 29
; NamedBarCnt: 0
; Occupancy: 16
; WaveLimiterHint : 0
; COMPUTE_PGM_RSRC2:SCRATCH_EN: 0
; COMPUTE_PGM_RSRC2:USER_SGPR: 2
; COMPUTE_PGM_RSRC2:TRAP_HANDLER: 0
; COMPUTE_PGM_RSRC2:TGID_X_EN: 1
; COMPUTE_PGM_RSRC2:TGID_Y_EN: 0
; COMPUTE_PGM_RSRC2:TGID_Z_EN: 0
; COMPUTE_PGM_RSRC2:TIDIG_COMP_CNT: 0
	.section	.text._ZN4vllm25fused_add_rms_norm_kernelIN3c108BFloat16ELi8EEENSt9enable_ifIXooeqT0_Li0Entsr12_typeConvertIT_EE6existsEvE4typeEPS4_lS7_PKS4_fii,"axG",@progbits,_ZN4vllm25fused_add_rms_norm_kernelIN3c108BFloat16ELi8EEENSt9enable_ifIXooeqT0_Li0Entsr12_typeConvertIT_EE6existsEvE4typeEPS4_lS7_PKS4_fii,comdat
	.protected	_ZN4vllm25fused_add_rms_norm_kernelIN3c108BFloat16ELi8EEENSt9enable_ifIXooeqT0_Li0Entsr12_typeConvertIT_EE6existsEvE4typeEPS4_lS7_PKS4_fii ; -- Begin function _ZN4vllm25fused_add_rms_norm_kernelIN3c108BFloat16ELi8EEENSt9enable_ifIXooeqT0_Li0Entsr12_typeConvertIT_EE6existsEvE4typeEPS4_lS7_PKS4_fii
	.globl	_ZN4vllm25fused_add_rms_norm_kernelIN3c108BFloat16ELi8EEENSt9enable_ifIXooeqT0_Li0Entsr12_typeConvertIT_EE6existsEvE4typeEPS4_lS7_PKS4_fii
	.p2align	8
	.type	_ZN4vllm25fused_add_rms_norm_kernelIN3c108BFloat16ELi8EEENSt9enable_ifIXooeqT0_Li0Entsr12_typeConvertIT_EE6existsEvE4typeEPS4_lS7_PKS4_fii,@function
_ZN4vllm25fused_add_rms_norm_kernelIN3c108BFloat16ELi8EEENSt9enable_ifIXooeqT0_Li0Entsr12_typeConvertIT_EE6existsEvE4typeEPS4_lS7_PKS4_fii: ; @_ZN4vllm25fused_add_rms_norm_kernelIN3c108BFloat16ELi8EEENSt9enable_ifIXooeqT0_Li0Entsr12_typeConvertIT_EE6existsEvE4typeEPS4_lS7_PKS4_fii
; %bb.0:
	s_clause 0x1
	s_load_b32 s16, s[0:1], 0x28
	s_load_b64 s[8:9], s[0:1], 0x10
	s_getreg_b32 s12, hwreg(HW_REG_IB_STS2, 6, 4)
	s_mov_b32 s3, exec_lo
                                        ; implicit-def: $sgpr13
                                        ; implicit-def: $sgpr14
	s_wait_kmcnt 0x0
	v_cmp_gt_i32_e64 s2, s16, v0
	v_cmpx_le_i32_e64 s16, v0
	s_xor_b32 s3, exec_lo, s3
	s_cbranch_execz .LBB5_2
; %bb.1:
	s_load_b32 s4, s[0:1], 0x3c
	s_bfe_u32 s5, ttmp6, 0x4000c
	s_and_b32 s6, ttmp6, 15
	s_add_co_i32 s5, s5, 1
	s_delay_alu instid0(SALU_CYCLE_1) | instskip(NEXT) | instid1(SALU_CYCLE_1)
	s_mul_i32 s5, ttmp9, s5
	s_add_co_i32 s6, s6, s5
	s_cmp_eq_u32 s12, 0
	s_cselect_b32 s13, ttmp9, s6
	s_wait_kmcnt 0x0
	s_and_b32 s14, s4, 0xffff
.LBB5_2:
	s_or_saveexec_b32 s3, s3
	s_clause 0x1
	s_load_b64 s[10:11], s[0:1], 0x18
	s_load_b128 s[4:7], s[0:1], 0x0
	v_dual_mov_b32 v3, 0 :: v_dual_mov_b32 v2, s13
	v_mov_b32_e32 v4, s14
	s_xor_b32 exec_lo, exec_lo, s3
	s_cbranch_execz .LBB5_6
; %bb.3:
	s_load_b32 s17, s[0:1], 0x3c
	s_bfe_u32 s13, ttmp6, 0x4000c
	s_and_b32 s14, ttmp6, 15
	s_add_co_i32 s13, s13, 1
	v_dual_mov_b32 v3, 0 :: v_dual_mov_b32 v1, v0
	s_mul_i32 s13, ttmp9, s13
	s_delay_alu instid0(SALU_CYCLE_1)
	s_add_co_i32 s14, s14, s13
	s_cmp_eq_u32 s12, 0
	s_mov_b32 s13, 0
	s_cselect_b32 s12, ttmp9, s14
	s_wait_kmcnt 0x0
	s_mul_u64 s[14:15], s[6:7], s[12:13]
	s_mul_i32 s18, s16, s12
	s_lshl_b64 s[14:15], s[14:15], 1
	s_delay_alu instid0(SALU_CYCLE_1)
	s_add_nc_u64 s[14:15], s[4:5], s[14:15]
	s_and_b32 s17, s17, 0xffff
.LBB5_4:                                ; =>This Inner Loop Header: Depth=1
	v_add_nc_u32_e32 v2, s18, v1
	global_load_u16 v4, v1, s[14:15] scale_offset
	global_load_u16 v5, v2, s[8:9] scale_offset
	s_wait_loadcnt 0x0
	v_dual_lshlrev_b32 v4, 16, v4 :: v_dual_lshlrev_b32 v5, 16, v5
	s_delay_alu instid0(VALU_DEP_1) | instskip(NEXT) | instid1(VALU_DEP_1)
	v_add_f32_e32 v4, v5, v4
	v_bfe_u32 v5, v4, 16, 1
	s_delay_alu instid0(VALU_DEP_1) | instskip(NEXT) | instid1(VALU_DEP_1)
	v_add3_u32 v5, v4, v5, 0x7fff
	v_lshrrev_b32_e32 v5, 16, v5
	v_cmp_o_f32_e32 vcc_lo, v4, v4
	s_delay_alu instid0(VALU_DEP_2) | instskip(SKIP_1) | instid1(VALU_DEP_1)
	v_cndmask_b32_e32 v4, 0x7fc0, v5, vcc_lo
	s_wait_xcnt 0x1
	v_dual_add_nc_u32 v1, s17, v1 :: v_dual_lshlrev_b32 v5, 16, v4
	s_delay_alu instid0(VALU_DEP_1) | instskip(NEXT) | instid1(VALU_DEP_2)
	v_cmp_le_i32_e32 vcc_lo, s16, v1
	v_fmac_f32_e32 v3, v5, v5
	s_or_b32 s13, vcc_lo, s13
	global_store_b16 v2, v4, s[8:9] scale_offset
	s_wait_xcnt 0x0
	s_and_not1_b32 exec_lo, exec_lo, s13
	s_cbranch_execnz .LBB5_4
; %bb.5:
	s_or_b32 exec_lo, exec_lo, s13
	v_dual_mov_b32 v2, s12 :: v_dual_mov_b32 v4, s17
.LBB5_6:
	s_or_b32 exec_lo, exec_lo, s3
	v_mbcnt_lo_u32_b32 v1, -1, 0
	v_and_b32_e32 v6, 0x3c0, v0
	s_mov_b32 s3, exec_lo
	s_delay_alu instid0(VALU_DEP_2) | instskip(NEXT) | instid1(VALU_DEP_2)
	v_cmp_ne_u32_e32 vcc_lo, 63, v1
	v_sub_nc_u32_e64 v6, v4, v6 clamp
	v_add_nc_u32_e32 v8, 1, v1
	v_add_co_ci_u32_e64 v5, null, 0, v1, vcc_lo
	v_cmp_gt_u32_e32 vcc_lo, 62, v1
	s_delay_alu instid0(VALU_DEP_2)
	v_lshlrev_b32_e32 v5, 2, v5
	v_cndmask_b32_e64 v7, 0, 2, vcc_lo
	v_cmp_lt_u32_e32 vcc_lo, v8, v6
	v_add_nc_u32_e32 v8, 2, v1
	ds_bpermute_b32 v5, v5, v3
	v_add_lshl_u32 v7, v7, v1, 2
	s_wait_dscnt 0x0
	v_add_f32_e32 v5, v3, v5
	s_delay_alu instid0(VALU_DEP_1)
	v_cndmask_b32_e32 v3, v3, v5, vcc_lo
	v_cmp_gt_u32_e32 vcc_lo, 60, v1
	ds_bpermute_b32 v5, v7, v3
	v_cndmask_b32_e64 v7, 0, 4, vcc_lo
	v_cmp_lt_u32_e32 vcc_lo, v8, v6
	v_add_nc_u32_e32 v8, 4, v1
	s_delay_alu instid0(VALU_DEP_3) | instskip(SKIP_2) | instid1(VALU_DEP_1)
	v_add_lshl_u32 v7, v7, v1, 2
	s_wait_dscnt 0x0
	v_add_f32_e32 v5, v3, v5
	v_cndmask_b32_e32 v3, v3, v5, vcc_lo
	v_cmp_gt_u32_e32 vcc_lo, 56, v1
	ds_bpermute_b32 v5, v7, v3
	v_cndmask_b32_e64 v7, 0, 8, vcc_lo
	v_cmp_lt_u32_e32 vcc_lo, v8, v6
	v_add_nc_u32_e32 v8, 8, v1
	s_delay_alu instid0(VALU_DEP_3) | instskip(SKIP_2) | instid1(VALU_DEP_1)
	v_add_lshl_u32 v7, v7, v1, 2
	s_wait_dscnt 0x0
	v_add_f32_e32 v5, v3, v5
	v_cndmask_b32_e32 v3, v3, v5, vcc_lo
	v_cmp_gt_u32_e32 vcc_lo, 48, v1
	ds_bpermute_b32 v5, v7, v3
	v_cndmask_b32_e64 v7, 0, 16, vcc_lo
	v_cmp_lt_u32_e32 vcc_lo, v8, v6
	s_delay_alu instid0(VALU_DEP_2) | instskip(SKIP_2) | instid1(VALU_DEP_1)
	v_add_lshl_u32 v7, v7, v1, 2
	s_wait_dscnt 0x0
	v_add_f32_e32 v5, v3, v5
	v_cndmask_b32_e32 v5, v3, v5, vcc_lo
	ds_bpermute_b32 v3, v7, v5
	v_add_nc_u32_e32 v7, 16, v1
	s_delay_alu instid0(VALU_DEP_1) | instskip(SKIP_2) | instid1(VALU_DEP_1)
	v_cmp_lt_u32_e32 vcc_lo, v7, v6
	s_wait_dscnt 0x0
	v_dual_add_f32 v8, v5, v3 :: v_dual_lshlrev_b32 v3, 2, v1
	v_dual_cndmask_b32 v5, v5, v8, vcc_lo :: v_dual_bitop2_b32 v8, 32, v1 bitop3:0x54
	ds_bpermute_b32 v7, v3, v5 offset:128
	v_cmp_lt_u32_e32 vcc_lo, v8, v6
	s_wait_dscnt 0x0
	v_add_f32_e32 v7, v5, v7
	s_delay_alu instid0(VALU_DEP_1)
	v_cndmask_b32_e32 v5, v5, v7, vcc_lo
	v_cmpx_eq_u32_e32 0, v1
; %bb.7:
	v_lshrrev_b32_e32 v6, 4, v0
	s_delay_alu instid0(VALU_DEP_1)
	v_and_b32_e32 v6, 60, v6
	ds_store_b32 v6, v5
; %bb.8:
	s_or_b32 exec_lo, exec_lo, s3
	s_delay_alu instid0(SALU_CYCLE_1)
	s_mov_b32 s12, exec_lo
	s_wait_storecnt_dscnt 0x0
	s_barrier_signal -1
	s_barrier_wait -1
	v_cmpx_gt_u32_e32 16, v0
	s_cbranch_execz .LBB5_10
; %bb.9:
	ds_load_b32 v5, v3
	v_and_b32_e32 v6, 15, v1
	v_or_b32_e32 v3, 32, v3
	s_delay_alu instid0(VALU_DEP_2) | instskip(SKIP_1) | instid1(VALU_DEP_1)
	v_cmp_ne_u32_e32 vcc_lo, 15, v6
	v_add_co_ci_u32_e64 v7, null, 0, v1, vcc_lo
	v_dual_lshlrev_b32 v7, 2, v7 :: v_dual_add_nc_u32 v8, 63, v4
	v_add_nc_u32_e32 v10, 1, v6
	v_cmp_gt_u32_e32 vcc_lo, 14, v6
	v_add_nc_u32_e32 v11, 2, v6
	s_wait_dscnt 0x0
	ds_bpermute_b32 v7, v7, v5
	v_lshrrev_b32_e32 v8, 6, v8
	v_cmp_gt_u32_e64 s3, 12, v6
	v_cndmask_b32_e64 v9, 0, 2, vcc_lo
	s_delay_alu instid0(VALU_DEP_1)
	v_add_lshl_u32 v9, v9, v1, 2
	s_wait_dscnt 0x0
	v_add_f32_e32 v7, v5, v7
	v_cmp_lt_u32_e32 vcc_lo, v10, v8
	v_cndmask_b32_e64 v10, 0, 4, s3
	v_cmp_lt_u32_e64 s3, v11, v8
	s_delay_alu instid0(VALU_DEP_4) | instskip(NEXT) | instid1(VALU_DEP_3)
	v_cndmask_b32_e32 v7, v5, v7, vcc_lo
	v_add_lshl_u32 v1, v10, v1, 2
	ds_bpermute_b32 v9, v9, v7
	s_wait_dscnt 0x0
	v_add_f32_e32 v9, v7, v9
	s_delay_alu instid0(VALU_DEP_1)
	v_dual_cndmask_b32 v7, v7, v9, s3 :: v_dual_add_nc_u32 v9, 4, v6
	v_add_nc_u32_e32 v6, 8, v6
	ds_bpermute_b32 v1, v1, v7
	v_cmp_lt_u32_e64 s3, v9, v8
	s_wait_dscnt 0x0
	v_add_f32_e32 v1, v7, v1
	s_delay_alu instid0(VALU_DEP_1) | instskip(SKIP_4) | instid1(VALU_DEP_1)
	v_cndmask_b32_e64 v1, v7, v1, s3
	v_cmp_lt_u32_e64 s3, v6, v8
	ds_bpermute_b32 v3, v3, v1
	s_wait_dscnt 0x0
	v_add_f32_e32 v3, v1, v3
	v_cndmask_b32_e64 v1, v1, v3, s3
	s_delay_alu instid0(VALU_DEP_1)
	v_cndmask_b32_e32 v5, v5, v1, vcc_lo
.LBB5_10:
	s_or_b32 exec_lo, exec_lo, s12
	s_delay_alu instid0(SALU_CYCLE_1)
	s_mov_b32 s3, exec_lo
	v_cmpx_eq_u32_e32 0, v0
	s_cbranch_execz .LBB5_12
; %bb.11:
	s_cvt_f32_i32 s12, s16
	s_wait_xcnt 0x0
	s_load_b32 s0, s[0:1], 0x20
	s_delay_alu instid0(SALU_CYCLE_1) | instskip(SKIP_1) | instid1(VALU_DEP_2)
	v_div_scale_f32 v1, null, s12, s12, v5
	v_div_scale_f32 v7, vcc_lo, v5, s12, v5
	v_rcp_f32_e32 v3, v1
	v_nop
	s_delay_alu instid0(TRANS32_DEP_1) | instskip(NEXT) | instid1(VALU_DEP_1)
	v_fma_f32 v6, -v1, v3, 1.0
	v_fmac_f32_e32 v3, v6, v3
	s_delay_alu instid0(VALU_DEP_1) | instskip(NEXT) | instid1(VALU_DEP_1)
	v_mul_f32_e32 v6, v7, v3
	v_fma_f32 v8, -v1, v6, v7
	s_delay_alu instid0(VALU_DEP_1) | instskip(NEXT) | instid1(VALU_DEP_1)
	v_fmac_f32_e32 v6, v8, v3
	v_fma_f32 v1, -v1, v6, v7
	s_delay_alu instid0(VALU_DEP_1) | instskip(NEXT) | instid1(VALU_DEP_1)
	v_div_fmas_f32 v1, v1, v3, v6
	v_div_fixup_f32 v1, v1, s12, v5
	s_wait_kmcnt 0x0
	s_delay_alu instid0(VALU_DEP_1) | instskip(NEXT) | instid1(VALU_DEP_1)
	v_add_f32_e32 v1, s0, v1
	v_mul_f32_e32 v3, 0x4b800000, v1
	v_cmp_gt_f32_e32 vcc_lo, 0x800000, v1
	s_delay_alu instid0(VALU_DEP_2) | instskip(NEXT) | instid1(VALU_DEP_1)
	v_cndmask_b32_e32 v1, v1, v3, vcc_lo
	v_rsq_f32_e32 v1, v1
	v_nop
	s_delay_alu instid0(TRANS32_DEP_1) | instskip(NEXT) | instid1(VALU_DEP_1)
	v_mul_f32_e32 v3, 0x45800000, v1
	v_dual_cndmask_b32 v1, v1, v3, vcc_lo :: v_dual_mov_b32 v3, 0
	ds_store_b32 v3, v1 offset:64
.LBB5_12:
	s_or_b32 exec_lo, exec_lo, s3
	s_wait_dscnt 0x0
	s_barrier_signal -1
	s_barrier_wait -1
	s_wait_xcnt 0x0
	s_and_saveexec_b32 s0, s2
	s_cbranch_execz .LBB5_15
; %bb.13:
	v_mov_b32_e32 v3, 0
	v_mul_lo_u32 v6, s16, v2
	s_mov_b32 s1, 0
	s_wait_kmcnt 0x0
	s_delay_alu instid0(VALU_DEP_2)
	v_mul_u64_e32 v[8:9], s[6:7], v[2:3]
	ds_load_b32 v5, v3 offset:64
	v_lshl_add_u64 v[2:3], v[8:9], 1, s[4:5]
.LBB5_14:                               ; =>This Inner Loop Header: Depth=1
	v_add_nc_u32_e32 v1, v6, v0
	global_load_u16 v7, v1, s[8:9] scale_offset
	global_load_u16 v8, v0, s[10:11] scale_offset
	s_wait_loadcnt 0x0
	s_wait_xcnt 0x1
	v_dual_lshlrev_b32 v1, 16, v7 :: v_dual_lshlrev_b32 v8, 16, v8
	s_wait_dscnt 0x0
	s_delay_alu instid0(VALU_DEP_1) | instskip(NEXT) | instid1(VALU_DEP_1)
	v_mul_f32_e32 v1, v5, v1
	v_bfe_u32 v7, v1, 16, 1
	v_cmp_o_f32_e32 vcc_lo, v1, v1
	s_delay_alu instid0(VALU_DEP_2) | instskip(NEXT) | instid1(VALU_DEP_1)
	v_add3_u32 v7, v1, v7, 0x7fff
	v_and_b32_e32 v7, 0xffff0000, v7
	s_delay_alu instid0(VALU_DEP_1) | instskip(NEXT) | instid1(VALU_DEP_1)
	v_cndmask_b32_e32 v1, 0x7fc00000, v7, vcc_lo
	v_mul_f32_e32 v7, v1, v8
	v_ashrrev_i32_e32 v1, 31, v0
	s_delay_alu instid0(VALU_DEP_2) | instskip(NEXT) | instid1(VALU_DEP_1)
	v_bfe_u32 v8, v7, 16, 1
	v_add3_u32 v10, v7, v8, 0x7fff
	s_delay_alu instid0(VALU_DEP_3) | instskip(SKIP_1) | instid1(VALU_DEP_2)
	v_lshl_add_u64 v[8:9], v[0:1], 1, v[2:3]
	s_wait_xcnt 0x0
	v_dual_add_nc_u32 v0, v0, v4 :: v_dual_lshrrev_b32 v1, 16, v10
	v_cmp_o_f32_e64 s0, v7, v7
	s_delay_alu instid0(VALU_DEP_2) | instskip(NEXT) | instid1(VALU_DEP_2)
	v_cmp_le_i32_e32 vcc_lo, s16, v0
	v_cndmask_b32_e64 v1, 0x7fc0, v1, s0
	s_or_b32 s1, vcc_lo, s1
	global_store_b16 v[8:9], v1, off
	s_wait_xcnt 0x0
	s_and_not1_b32 exec_lo, exec_lo, s1
	s_cbranch_execnz .LBB5_14
.LBB5_15:
	s_endpgm
	.section	.rodata,"a",@progbits
	.p2align	6, 0x0
	.amdhsa_kernel _ZN4vllm25fused_add_rms_norm_kernelIN3c108BFloat16ELi8EEENSt9enable_ifIXooeqT0_Li0Entsr12_typeConvertIT_EE6existsEvE4typeEPS4_lS7_PKS4_fii
		.amdhsa_group_segment_fixed_size 68
		.amdhsa_private_segment_fixed_size 0
		.amdhsa_kernarg_size 304
		.amdhsa_user_sgpr_count 2
		.amdhsa_user_sgpr_dispatch_ptr 0
		.amdhsa_user_sgpr_queue_ptr 0
		.amdhsa_user_sgpr_kernarg_segment_ptr 1
		.amdhsa_user_sgpr_dispatch_id 0
		.amdhsa_user_sgpr_kernarg_preload_length 0
		.amdhsa_user_sgpr_kernarg_preload_offset 0
		.amdhsa_user_sgpr_private_segment_size 0
		.amdhsa_wavefront_size32 1
		.amdhsa_uses_dynamic_stack 0
		.amdhsa_enable_private_segment 0
		.amdhsa_system_sgpr_workgroup_id_x 1
		.amdhsa_system_sgpr_workgroup_id_y 0
		.amdhsa_system_sgpr_workgroup_id_z 0
		.amdhsa_system_sgpr_workgroup_info 0
		.amdhsa_system_vgpr_workitem_id 0
		.amdhsa_next_free_vgpr 12
		.amdhsa_next_free_sgpr 19
		.amdhsa_named_barrier_count 0
		.amdhsa_reserve_vcc 1
		.amdhsa_float_round_mode_32 0
		.amdhsa_float_round_mode_16_64 0
		.amdhsa_float_denorm_mode_32 3
		.amdhsa_float_denorm_mode_16_64 3
		.amdhsa_fp16_overflow 0
		.amdhsa_memory_ordered 1
		.amdhsa_forward_progress 1
		.amdhsa_inst_pref_size 13
		.amdhsa_round_robin_scheduling 0
		.amdhsa_exception_fp_ieee_invalid_op 0
		.amdhsa_exception_fp_denorm_src 0
		.amdhsa_exception_fp_ieee_div_zero 0
		.amdhsa_exception_fp_ieee_overflow 0
		.amdhsa_exception_fp_ieee_underflow 0
		.amdhsa_exception_fp_ieee_inexact 0
		.amdhsa_exception_int_div_zero 0
	.end_amdhsa_kernel
	.section	.text._ZN4vllm25fused_add_rms_norm_kernelIN3c108BFloat16ELi8EEENSt9enable_ifIXooeqT0_Li0Entsr12_typeConvertIT_EE6existsEvE4typeEPS4_lS7_PKS4_fii,"axG",@progbits,_ZN4vllm25fused_add_rms_norm_kernelIN3c108BFloat16ELi8EEENSt9enable_ifIXooeqT0_Li0Entsr12_typeConvertIT_EE6existsEvE4typeEPS4_lS7_PKS4_fii,comdat
.Lfunc_end5:
	.size	_ZN4vllm25fused_add_rms_norm_kernelIN3c108BFloat16ELi8EEENSt9enable_ifIXooeqT0_Li0Entsr12_typeConvertIT_EE6existsEvE4typeEPS4_lS7_PKS4_fii, .Lfunc_end5-_ZN4vllm25fused_add_rms_norm_kernelIN3c108BFloat16ELi8EEENSt9enable_ifIXooeqT0_Li0Entsr12_typeConvertIT_EE6existsEvE4typeEPS4_lS7_PKS4_fii
                                        ; -- End function
	.set _ZN4vllm25fused_add_rms_norm_kernelIN3c108BFloat16ELi8EEENSt9enable_ifIXooeqT0_Li0Entsr12_typeConvertIT_EE6existsEvE4typeEPS4_lS7_PKS4_fii.num_vgpr, 12
	.set _ZN4vllm25fused_add_rms_norm_kernelIN3c108BFloat16ELi8EEENSt9enable_ifIXooeqT0_Li0Entsr12_typeConvertIT_EE6existsEvE4typeEPS4_lS7_PKS4_fii.num_agpr, 0
	.set _ZN4vllm25fused_add_rms_norm_kernelIN3c108BFloat16ELi8EEENSt9enable_ifIXooeqT0_Li0Entsr12_typeConvertIT_EE6existsEvE4typeEPS4_lS7_PKS4_fii.numbered_sgpr, 19
	.set _ZN4vllm25fused_add_rms_norm_kernelIN3c108BFloat16ELi8EEENSt9enable_ifIXooeqT0_Li0Entsr12_typeConvertIT_EE6existsEvE4typeEPS4_lS7_PKS4_fii.num_named_barrier, 0
	.set _ZN4vllm25fused_add_rms_norm_kernelIN3c108BFloat16ELi8EEENSt9enable_ifIXooeqT0_Li0Entsr12_typeConvertIT_EE6existsEvE4typeEPS4_lS7_PKS4_fii.private_seg_size, 0
	.set _ZN4vllm25fused_add_rms_norm_kernelIN3c108BFloat16ELi8EEENSt9enable_ifIXooeqT0_Li0Entsr12_typeConvertIT_EE6existsEvE4typeEPS4_lS7_PKS4_fii.uses_vcc, 1
	.set _ZN4vllm25fused_add_rms_norm_kernelIN3c108BFloat16ELi8EEENSt9enable_ifIXooeqT0_Li0Entsr12_typeConvertIT_EE6existsEvE4typeEPS4_lS7_PKS4_fii.uses_flat_scratch, 0
	.set _ZN4vllm25fused_add_rms_norm_kernelIN3c108BFloat16ELi8EEENSt9enable_ifIXooeqT0_Li0Entsr12_typeConvertIT_EE6existsEvE4typeEPS4_lS7_PKS4_fii.has_dyn_sized_stack, 0
	.set _ZN4vllm25fused_add_rms_norm_kernelIN3c108BFloat16ELi8EEENSt9enable_ifIXooeqT0_Li0Entsr12_typeConvertIT_EE6existsEvE4typeEPS4_lS7_PKS4_fii.has_recursion, 0
	.set _ZN4vllm25fused_add_rms_norm_kernelIN3c108BFloat16ELi8EEENSt9enable_ifIXooeqT0_Li0Entsr12_typeConvertIT_EE6existsEvE4typeEPS4_lS7_PKS4_fii.has_indirect_call, 0
	.section	.AMDGPU.csdata,"",@progbits
; Kernel info:
; codeLenInByte = 1572
; TotalNumSgprs: 21
; NumVgprs: 12
; ScratchSize: 0
; MemoryBound: 0
; FloatMode: 240
; IeeeMode: 1
; LDSByteSize: 68 bytes/workgroup (compile time only)
; SGPRBlocks: 0
; VGPRBlocks: 0
; NumSGPRsForWavesPerEU: 21
; NumVGPRsForWavesPerEU: 12
; NamedBarCnt: 0
; Occupancy: 16
; WaveLimiterHint : 0
; COMPUTE_PGM_RSRC2:SCRATCH_EN: 0
; COMPUTE_PGM_RSRC2:USER_SGPR: 2
; COMPUTE_PGM_RSRC2:TRAP_HANDLER: 0
; COMPUTE_PGM_RSRC2:TGID_X_EN: 1
; COMPUTE_PGM_RSRC2:TGID_Y_EN: 0
; COMPUTE_PGM_RSRC2:TGID_Z_EN: 0
; COMPUTE_PGM_RSRC2:TIDIG_COMP_CNT: 0
	.section	.text._ZN4vllm25fused_add_rms_norm_kernelIfLi0EEENSt9enable_ifIXooeqT0_Li0Entsr12_typeConvertIT_EE6existsEvE4typeEPS2_lS5_PKS2_fii,"axG",@progbits,_ZN4vllm25fused_add_rms_norm_kernelIfLi0EEENSt9enable_ifIXooeqT0_Li0Entsr12_typeConvertIT_EE6existsEvE4typeEPS2_lS5_PKS2_fii,comdat
	.protected	_ZN4vllm25fused_add_rms_norm_kernelIfLi0EEENSt9enable_ifIXooeqT0_Li0Entsr12_typeConvertIT_EE6existsEvE4typeEPS2_lS5_PKS2_fii ; -- Begin function _ZN4vllm25fused_add_rms_norm_kernelIfLi0EEENSt9enable_ifIXooeqT0_Li0Entsr12_typeConvertIT_EE6existsEvE4typeEPS2_lS5_PKS2_fii
	.globl	_ZN4vllm25fused_add_rms_norm_kernelIfLi0EEENSt9enable_ifIXooeqT0_Li0Entsr12_typeConvertIT_EE6existsEvE4typeEPS2_lS5_PKS2_fii
	.p2align	8
	.type	_ZN4vllm25fused_add_rms_norm_kernelIfLi0EEENSt9enable_ifIXooeqT0_Li0Entsr12_typeConvertIT_EE6existsEvE4typeEPS2_lS5_PKS2_fii,@function
_ZN4vllm25fused_add_rms_norm_kernelIfLi0EEENSt9enable_ifIXooeqT0_Li0Entsr12_typeConvertIT_EE6existsEvE4typeEPS2_lS5_PKS2_fii: ; @_ZN4vllm25fused_add_rms_norm_kernelIfLi0EEENSt9enable_ifIXooeqT0_Li0Entsr12_typeConvertIT_EE6existsEvE4typeEPS2_lS5_PKS2_fii
; %bb.0:
	s_clause 0x1
	s_load_b32 s16, s[0:1], 0x28
	s_load_b64 s[8:9], s[0:1], 0x10
	s_getreg_b32 s12, hwreg(HW_REG_IB_STS2, 6, 4)
	s_mov_b32 s3, exec_lo
                                        ; implicit-def: $sgpr13
                                        ; implicit-def: $sgpr14
	s_wait_kmcnt 0x0
	v_cmp_gt_i32_e64 s2, s16, v0
	v_cmpx_le_i32_e64 s16, v0
	s_xor_b32 s3, exec_lo, s3
	s_cbranch_execz .LBB6_2
; %bb.1:
	s_load_b32 s4, s[0:1], 0x3c
	s_bfe_u32 s5, ttmp6, 0x4000c
	s_and_b32 s6, ttmp6, 15
	s_add_co_i32 s5, s5, 1
	s_delay_alu instid0(SALU_CYCLE_1) | instskip(NEXT) | instid1(SALU_CYCLE_1)
	s_mul_i32 s5, ttmp9, s5
	s_add_co_i32 s6, s6, s5
	s_cmp_eq_u32 s12, 0
	s_cselect_b32 s13, ttmp9, s6
	s_wait_kmcnt 0x0
	s_and_b32 s14, s4, 0xffff
.LBB6_2:
	s_or_saveexec_b32 s3, s3
	s_clause 0x1
	s_load_b64 s[10:11], s[0:1], 0x18
	s_load_b128 s[4:7], s[0:1], 0x0
	v_dual_mov_b32 v3, 0 :: v_dual_mov_b32 v2, s13
	v_mov_b32_e32 v4, s14
	s_xor_b32 exec_lo, exec_lo, s3
	s_cbranch_execz .LBB6_6
; %bb.3:
	s_load_b32 s17, s[0:1], 0x3c
	s_bfe_u32 s13, ttmp6, 0x4000c
	s_and_b32 s14, ttmp6, 15
	s_add_co_i32 s13, s13, 1
	v_dual_mov_b32 v3, 0 :: v_dual_mov_b32 v1, v0
	s_mul_i32 s13, ttmp9, s13
	s_delay_alu instid0(SALU_CYCLE_1)
	s_add_co_i32 s14, s14, s13
	s_cmp_eq_u32 s12, 0
	s_mov_b32 s13, 0
	s_cselect_b32 s12, ttmp9, s14
	s_wait_kmcnt 0x0
	s_mul_u64 s[14:15], s[6:7], s[12:13]
	s_mul_i32 s18, s16, s12
	s_lshl_b64 s[14:15], s[14:15], 2
	s_delay_alu instid0(SALU_CYCLE_1)
	s_add_nc_u64 s[14:15], s[4:5], s[14:15]
	s_and_b32 s17, s17, 0xffff
.LBB6_4:                                ; =>This Inner Loop Header: Depth=1
	v_add_nc_u32_e32 v2, s18, v1
	global_load_b32 v4, v1, s[14:15] scale_offset
	global_load_b32 v5, v2, s[8:9] scale_offset
	s_wait_xcnt 0x1
	v_add_nc_u32_e32 v1, s17, v1
	s_delay_alu instid0(VALU_DEP_1) | instskip(SKIP_3) | instid1(VALU_DEP_1)
	v_cmp_le_i32_e32 vcc_lo, s16, v1
	s_or_b32 s13, vcc_lo, s13
	s_wait_loadcnt 0x0
	v_add_f32_e32 v4, v4, v5
	v_fmac_f32_e32 v3, v4, v4
	global_store_b32 v2, v4, s[8:9] scale_offset
	s_wait_xcnt 0x0
	s_and_not1_b32 exec_lo, exec_lo, s13
	s_cbranch_execnz .LBB6_4
; %bb.5:
	s_or_b32 exec_lo, exec_lo, s13
	v_dual_mov_b32 v2, s12 :: v_dual_mov_b32 v4, s17
.LBB6_6:
	s_or_b32 exec_lo, exec_lo, s3
	v_mbcnt_lo_u32_b32 v1, -1, 0
	v_and_b32_e32 v6, 0x3c0, v0
	s_mov_b32 s3, exec_lo
	s_delay_alu instid0(VALU_DEP_2) | instskip(NEXT) | instid1(VALU_DEP_2)
	v_cmp_ne_u32_e32 vcc_lo, 63, v1
	v_sub_nc_u32_e64 v6, v4, v6 clamp
	v_add_nc_u32_e32 v8, 1, v1
	v_add_co_ci_u32_e64 v5, null, 0, v1, vcc_lo
	v_cmp_gt_u32_e32 vcc_lo, 62, v1
	s_delay_alu instid0(VALU_DEP_2)
	v_lshlrev_b32_e32 v5, 2, v5
	v_cndmask_b32_e64 v7, 0, 2, vcc_lo
	v_cmp_lt_u32_e32 vcc_lo, v8, v6
	v_add_nc_u32_e32 v8, 2, v1
	ds_bpermute_b32 v5, v5, v3
	v_add_lshl_u32 v7, v7, v1, 2
	s_wait_dscnt 0x0
	v_add_f32_e32 v5, v3, v5
	s_delay_alu instid0(VALU_DEP_1)
	v_cndmask_b32_e32 v3, v3, v5, vcc_lo
	v_cmp_gt_u32_e32 vcc_lo, 60, v1
	ds_bpermute_b32 v5, v7, v3
	v_cndmask_b32_e64 v7, 0, 4, vcc_lo
	v_cmp_lt_u32_e32 vcc_lo, v8, v6
	v_add_nc_u32_e32 v8, 4, v1
	s_delay_alu instid0(VALU_DEP_3) | instskip(SKIP_2) | instid1(VALU_DEP_1)
	v_add_lshl_u32 v7, v7, v1, 2
	s_wait_dscnt 0x0
	v_add_f32_e32 v5, v3, v5
	v_cndmask_b32_e32 v3, v3, v5, vcc_lo
	v_cmp_gt_u32_e32 vcc_lo, 56, v1
	ds_bpermute_b32 v5, v7, v3
	v_cndmask_b32_e64 v7, 0, 8, vcc_lo
	v_cmp_lt_u32_e32 vcc_lo, v8, v6
	v_add_nc_u32_e32 v8, 8, v1
	s_delay_alu instid0(VALU_DEP_3) | instskip(SKIP_2) | instid1(VALU_DEP_1)
	v_add_lshl_u32 v7, v7, v1, 2
	s_wait_dscnt 0x0
	v_add_f32_e32 v5, v3, v5
	v_cndmask_b32_e32 v3, v3, v5, vcc_lo
	v_cmp_gt_u32_e32 vcc_lo, 48, v1
	ds_bpermute_b32 v5, v7, v3
	v_cndmask_b32_e64 v7, 0, 16, vcc_lo
	v_cmp_lt_u32_e32 vcc_lo, v8, v6
	s_delay_alu instid0(VALU_DEP_2) | instskip(SKIP_2) | instid1(VALU_DEP_1)
	v_add_lshl_u32 v7, v7, v1, 2
	s_wait_dscnt 0x0
	v_add_f32_e32 v5, v3, v5
	v_cndmask_b32_e32 v5, v3, v5, vcc_lo
	ds_bpermute_b32 v3, v7, v5
	v_add_nc_u32_e32 v7, 16, v1
	s_delay_alu instid0(VALU_DEP_1) | instskip(SKIP_2) | instid1(VALU_DEP_1)
	v_cmp_lt_u32_e32 vcc_lo, v7, v6
	s_wait_dscnt 0x0
	v_dual_add_f32 v8, v5, v3 :: v_dual_lshlrev_b32 v3, 2, v1
	v_dual_cndmask_b32 v5, v5, v8, vcc_lo :: v_dual_bitop2_b32 v8, 32, v1 bitop3:0x54
	ds_bpermute_b32 v7, v3, v5 offset:128
	v_cmp_lt_u32_e32 vcc_lo, v8, v6
	s_wait_dscnt 0x0
	v_add_f32_e32 v7, v5, v7
	s_delay_alu instid0(VALU_DEP_1)
	v_cndmask_b32_e32 v5, v5, v7, vcc_lo
	v_cmpx_eq_u32_e32 0, v1
; %bb.7:
	v_lshrrev_b32_e32 v6, 4, v0
	s_delay_alu instid0(VALU_DEP_1)
	v_and_b32_e32 v6, 60, v6
	ds_store_b32 v6, v5
; %bb.8:
	s_or_b32 exec_lo, exec_lo, s3
	s_delay_alu instid0(SALU_CYCLE_1)
	s_mov_b32 s12, exec_lo
	s_wait_storecnt_dscnt 0x0
	s_barrier_signal -1
	s_barrier_wait -1
	v_cmpx_gt_u32_e32 16, v0
	s_cbranch_execz .LBB6_10
; %bb.9:
	ds_load_b32 v5, v3
	v_and_b32_e32 v6, 15, v1
	v_or_b32_e32 v3, 32, v3
	s_delay_alu instid0(VALU_DEP_2) | instskip(SKIP_1) | instid1(VALU_DEP_1)
	v_cmp_ne_u32_e32 vcc_lo, 15, v6
	v_add_co_ci_u32_e64 v7, null, 0, v1, vcc_lo
	v_dual_lshlrev_b32 v7, 2, v7 :: v_dual_add_nc_u32 v8, 63, v4
	v_add_nc_u32_e32 v10, 1, v6
	v_cmp_gt_u32_e32 vcc_lo, 14, v6
	v_add_nc_u32_e32 v11, 2, v6
	s_wait_dscnt 0x0
	ds_bpermute_b32 v7, v7, v5
	v_lshrrev_b32_e32 v8, 6, v8
	v_cmp_gt_u32_e64 s3, 12, v6
	v_cndmask_b32_e64 v9, 0, 2, vcc_lo
	s_delay_alu instid0(VALU_DEP_1)
	v_add_lshl_u32 v9, v9, v1, 2
	s_wait_dscnt 0x0
	v_add_f32_e32 v7, v5, v7
	v_cmp_lt_u32_e32 vcc_lo, v10, v8
	v_cndmask_b32_e64 v10, 0, 4, s3
	v_cmp_lt_u32_e64 s3, v11, v8
	s_delay_alu instid0(VALU_DEP_4) | instskip(NEXT) | instid1(VALU_DEP_3)
	v_cndmask_b32_e32 v7, v5, v7, vcc_lo
	v_add_lshl_u32 v1, v10, v1, 2
	ds_bpermute_b32 v9, v9, v7
	s_wait_dscnt 0x0
	v_add_f32_e32 v9, v7, v9
	s_delay_alu instid0(VALU_DEP_1)
	v_dual_cndmask_b32 v7, v7, v9, s3 :: v_dual_add_nc_u32 v9, 4, v6
	v_add_nc_u32_e32 v6, 8, v6
	ds_bpermute_b32 v1, v1, v7
	v_cmp_lt_u32_e64 s3, v9, v8
	s_wait_dscnt 0x0
	v_add_f32_e32 v1, v7, v1
	s_delay_alu instid0(VALU_DEP_1) | instskip(SKIP_4) | instid1(VALU_DEP_1)
	v_cndmask_b32_e64 v1, v7, v1, s3
	v_cmp_lt_u32_e64 s3, v6, v8
	ds_bpermute_b32 v3, v3, v1
	s_wait_dscnt 0x0
	v_add_f32_e32 v3, v1, v3
	v_cndmask_b32_e64 v1, v1, v3, s3
	s_delay_alu instid0(VALU_DEP_1)
	v_cndmask_b32_e32 v5, v5, v1, vcc_lo
.LBB6_10:
	s_or_b32 exec_lo, exec_lo, s12
	s_delay_alu instid0(SALU_CYCLE_1)
	s_mov_b32 s3, exec_lo
	v_cmpx_eq_u32_e32 0, v0
	s_cbranch_execz .LBB6_12
; %bb.11:
	s_cvt_f32_i32 s12, s16
	s_wait_xcnt 0x0
	s_load_b32 s0, s[0:1], 0x20
	s_delay_alu instid0(SALU_CYCLE_1) | instskip(SKIP_1) | instid1(VALU_DEP_2)
	v_div_scale_f32 v1, null, s12, s12, v5
	v_div_scale_f32 v7, vcc_lo, v5, s12, v5
	v_rcp_f32_e32 v3, v1
	v_nop
	s_delay_alu instid0(TRANS32_DEP_1) | instskip(NEXT) | instid1(VALU_DEP_1)
	v_fma_f32 v6, -v1, v3, 1.0
	v_fmac_f32_e32 v3, v6, v3
	s_delay_alu instid0(VALU_DEP_1) | instskip(NEXT) | instid1(VALU_DEP_1)
	v_mul_f32_e32 v6, v7, v3
	v_fma_f32 v8, -v1, v6, v7
	s_delay_alu instid0(VALU_DEP_1) | instskip(NEXT) | instid1(VALU_DEP_1)
	v_fmac_f32_e32 v6, v8, v3
	v_fma_f32 v1, -v1, v6, v7
	s_delay_alu instid0(VALU_DEP_1) | instskip(NEXT) | instid1(VALU_DEP_1)
	v_div_fmas_f32 v1, v1, v3, v6
	v_div_fixup_f32 v1, v1, s12, v5
	s_wait_kmcnt 0x0
	s_delay_alu instid0(VALU_DEP_1) | instskip(NEXT) | instid1(VALU_DEP_1)
	v_add_f32_e32 v1, s0, v1
	v_mul_f32_e32 v3, 0x4b800000, v1
	v_cmp_gt_f32_e32 vcc_lo, 0x800000, v1
	s_delay_alu instid0(VALU_DEP_2) | instskip(NEXT) | instid1(VALU_DEP_1)
	v_cndmask_b32_e32 v1, v1, v3, vcc_lo
	v_rsq_f32_e32 v1, v1
	v_nop
	s_delay_alu instid0(TRANS32_DEP_1) | instskip(NEXT) | instid1(VALU_DEP_1)
	v_mul_f32_e32 v3, 0x45800000, v1
	v_dual_cndmask_b32 v1, v1, v3, vcc_lo :: v_dual_mov_b32 v3, 0
	ds_store_b32 v3, v1 offset:64
.LBB6_12:
	s_or_b32 exec_lo, exec_lo, s3
	s_wait_dscnt 0x0
	s_barrier_signal -1
	s_barrier_wait -1
	s_wait_xcnt 0x0
	s_and_saveexec_b32 s0, s2
	s_cbranch_execz .LBB6_15
; %bb.13:
	v_mov_b32_e32 v3, 0
	v_mul_lo_u32 v6, s16, v2
	s_mov_b32 s0, 0
	s_wait_kmcnt 0x0
	s_delay_alu instid0(VALU_DEP_2)
	v_mul_u64_e32 v[8:9], s[6:7], v[2:3]
	ds_load_b32 v5, v3 offset:64
	v_lshl_add_u64 v[2:3], v[8:9], 2, s[4:5]
.LBB6_14:                               ; =>This Inner Loop Header: Depth=1
	v_add_nc_u32_e32 v1, v6, v0
	global_load_b32 v7, v1, s[8:9] scale_offset
	global_load_b32 v10, v0, s[10:11] scale_offset
	s_wait_xcnt 0x1
	v_ashrrev_i32_e32 v1, 31, v0
	s_delay_alu instid0(VALU_DEP_1) | instskip(SKIP_3) | instid1(VALU_DEP_1)
	v_lshl_add_u64 v[8:9], v[0:1], 2, v[2:3]
	s_wait_loadcnt_dscnt 0x100
	s_wait_xcnt 0x0
	v_dual_mul_f32 v1, v7, v5 :: v_dual_add_nc_u32 v0, v0, v4
	v_cmp_le_i32_e32 vcc_lo, s16, v0
	s_wait_loadcnt 0x0
	s_delay_alu instid0(VALU_DEP_2)
	v_mul_f32_e32 v1, v1, v10
	s_or_b32 s0, vcc_lo, s0
	global_store_b32 v[8:9], v1, off
	s_wait_xcnt 0x0
	s_and_not1_b32 exec_lo, exec_lo, s0
	s_cbranch_execnz .LBB6_14
.LBB6_15:
	s_endpgm
	.section	.rodata,"a",@progbits
	.p2align	6, 0x0
	.amdhsa_kernel _ZN4vllm25fused_add_rms_norm_kernelIfLi0EEENSt9enable_ifIXooeqT0_Li0Entsr12_typeConvertIT_EE6existsEvE4typeEPS2_lS5_PKS2_fii
		.amdhsa_group_segment_fixed_size 68
		.amdhsa_private_segment_fixed_size 0
		.amdhsa_kernarg_size 304
		.amdhsa_user_sgpr_count 2
		.amdhsa_user_sgpr_dispatch_ptr 0
		.amdhsa_user_sgpr_queue_ptr 0
		.amdhsa_user_sgpr_kernarg_segment_ptr 1
		.amdhsa_user_sgpr_dispatch_id 0
		.amdhsa_user_sgpr_kernarg_preload_length 0
		.amdhsa_user_sgpr_kernarg_preload_offset 0
		.amdhsa_user_sgpr_private_segment_size 0
		.amdhsa_wavefront_size32 1
		.amdhsa_uses_dynamic_stack 0
		.amdhsa_enable_private_segment 0
		.amdhsa_system_sgpr_workgroup_id_x 1
		.amdhsa_system_sgpr_workgroup_id_y 0
		.amdhsa_system_sgpr_workgroup_id_z 0
		.amdhsa_system_sgpr_workgroup_info 0
		.amdhsa_system_vgpr_workitem_id 0
		.amdhsa_next_free_vgpr 12
		.amdhsa_next_free_sgpr 19
		.amdhsa_named_barrier_count 0
		.amdhsa_reserve_vcc 1
		.amdhsa_float_round_mode_32 0
		.amdhsa_float_round_mode_16_64 0
		.amdhsa_float_denorm_mode_32 3
		.amdhsa_float_denorm_mode_16_64 3
		.amdhsa_fp16_overflow 0
		.amdhsa_memory_ordered 1
		.amdhsa_forward_progress 1
		.amdhsa_inst_pref_size 11
		.amdhsa_round_robin_scheduling 0
		.amdhsa_exception_fp_ieee_invalid_op 0
		.amdhsa_exception_fp_denorm_src 0
		.amdhsa_exception_fp_ieee_div_zero 0
		.amdhsa_exception_fp_ieee_overflow 0
		.amdhsa_exception_fp_ieee_underflow 0
		.amdhsa_exception_fp_ieee_inexact 0
		.amdhsa_exception_int_div_zero 0
	.end_amdhsa_kernel
	.section	.text._ZN4vllm25fused_add_rms_norm_kernelIfLi0EEENSt9enable_ifIXooeqT0_Li0Entsr12_typeConvertIT_EE6existsEvE4typeEPS2_lS5_PKS2_fii,"axG",@progbits,_ZN4vllm25fused_add_rms_norm_kernelIfLi0EEENSt9enable_ifIXooeqT0_Li0Entsr12_typeConvertIT_EE6existsEvE4typeEPS2_lS5_PKS2_fii,comdat
.Lfunc_end6:
	.size	_ZN4vllm25fused_add_rms_norm_kernelIfLi0EEENSt9enable_ifIXooeqT0_Li0Entsr12_typeConvertIT_EE6existsEvE4typeEPS2_lS5_PKS2_fii, .Lfunc_end6-_ZN4vllm25fused_add_rms_norm_kernelIfLi0EEENSt9enable_ifIXooeqT0_Li0Entsr12_typeConvertIT_EE6existsEvE4typeEPS2_lS5_PKS2_fii
                                        ; -- End function
	.set _ZN4vllm25fused_add_rms_norm_kernelIfLi0EEENSt9enable_ifIXooeqT0_Li0Entsr12_typeConvertIT_EE6existsEvE4typeEPS2_lS5_PKS2_fii.num_vgpr, 12
	.set _ZN4vllm25fused_add_rms_norm_kernelIfLi0EEENSt9enable_ifIXooeqT0_Li0Entsr12_typeConvertIT_EE6existsEvE4typeEPS2_lS5_PKS2_fii.num_agpr, 0
	.set _ZN4vllm25fused_add_rms_norm_kernelIfLi0EEENSt9enable_ifIXooeqT0_Li0Entsr12_typeConvertIT_EE6existsEvE4typeEPS2_lS5_PKS2_fii.numbered_sgpr, 19
	.set _ZN4vllm25fused_add_rms_norm_kernelIfLi0EEENSt9enable_ifIXooeqT0_Li0Entsr12_typeConvertIT_EE6existsEvE4typeEPS2_lS5_PKS2_fii.num_named_barrier, 0
	.set _ZN4vllm25fused_add_rms_norm_kernelIfLi0EEENSt9enable_ifIXooeqT0_Li0Entsr12_typeConvertIT_EE6existsEvE4typeEPS2_lS5_PKS2_fii.private_seg_size, 0
	.set _ZN4vllm25fused_add_rms_norm_kernelIfLi0EEENSt9enable_ifIXooeqT0_Li0Entsr12_typeConvertIT_EE6existsEvE4typeEPS2_lS5_PKS2_fii.uses_vcc, 1
	.set _ZN4vllm25fused_add_rms_norm_kernelIfLi0EEENSt9enable_ifIXooeqT0_Li0Entsr12_typeConvertIT_EE6existsEvE4typeEPS2_lS5_PKS2_fii.uses_flat_scratch, 0
	.set _ZN4vllm25fused_add_rms_norm_kernelIfLi0EEENSt9enable_ifIXooeqT0_Li0Entsr12_typeConvertIT_EE6existsEvE4typeEPS2_lS5_PKS2_fii.has_dyn_sized_stack, 0
	.set _ZN4vllm25fused_add_rms_norm_kernelIfLi0EEENSt9enable_ifIXooeqT0_Li0Entsr12_typeConvertIT_EE6existsEvE4typeEPS2_lS5_PKS2_fii.has_recursion, 0
	.set _ZN4vllm25fused_add_rms_norm_kernelIfLi0EEENSt9enable_ifIXooeqT0_Li0Entsr12_typeConvertIT_EE6existsEvE4typeEPS2_lS5_PKS2_fii.has_indirect_call, 0
	.section	.AMDGPU.csdata,"",@progbits
; Kernel info:
; codeLenInByte = 1388
; TotalNumSgprs: 21
; NumVgprs: 12
; ScratchSize: 0
; MemoryBound: 0
; FloatMode: 240
; IeeeMode: 1
; LDSByteSize: 68 bytes/workgroup (compile time only)
; SGPRBlocks: 0
; VGPRBlocks: 0
; NumSGPRsForWavesPerEU: 21
; NumVGPRsForWavesPerEU: 12
; NamedBarCnt: 0
; Occupancy: 16
; WaveLimiterHint : 0
; COMPUTE_PGM_RSRC2:SCRATCH_EN: 0
; COMPUTE_PGM_RSRC2:USER_SGPR: 2
; COMPUTE_PGM_RSRC2:TRAP_HANDLER: 0
; COMPUTE_PGM_RSRC2:TGID_X_EN: 1
; COMPUTE_PGM_RSRC2:TGID_Y_EN: 0
; COMPUTE_PGM_RSRC2:TGID_Z_EN: 0
; COMPUTE_PGM_RSRC2:TIDIG_COMP_CNT: 0
	.section	.text._ZN4vllm25fused_add_rms_norm_kernelIN3c104HalfELi0EEENSt9enable_ifIXooeqT0_Li0Entsr12_typeConvertIT_EE6existsEvE4typeEPS4_lS7_PKS4_fii,"axG",@progbits,_ZN4vllm25fused_add_rms_norm_kernelIN3c104HalfELi0EEENSt9enable_ifIXooeqT0_Li0Entsr12_typeConvertIT_EE6existsEvE4typeEPS4_lS7_PKS4_fii,comdat
	.protected	_ZN4vllm25fused_add_rms_norm_kernelIN3c104HalfELi0EEENSt9enable_ifIXooeqT0_Li0Entsr12_typeConvertIT_EE6existsEvE4typeEPS4_lS7_PKS4_fii ; -- Begin function _ZN4vllm25fused_add_rms_norm_kernelIN3c104HalfELi0EEENSt9enable_ifIXooeqT0_Li0Entsr12_typeConvertIT_EE6existsEvE4typeEPS4_lS7_PKS4_fii
	.globl	_ZN4vllm25fused_add_rms_norm_kernelIN3c104HalfELi0EEENSt9enable_ifIXooeqT0_Li0Entsr12_typeConvertIT_EE6existsEvE4typeEPS4_lS7_PKS4_fii
	.p2align	8
	.type	_ZN4vllm25fused_add_rms_norm_kernelIN3c104HalfELi0EEENSt9enable_ifIXooeqT0_Li0Entsr12_typeConvertIT_EE6existsEvE4typeEPS4_lS7_PKS4_fii,@function
_ZN4vllm25fused_add_rms_norm_kernelIN3c104HalfELi0EEENSt9enable_ifIXooeqT0_Li0Entsr12_typeConvertIT_EE6existsEvE4typeEPS4_lS7_PKS4_fii: ; @_ZN4vllm25fused_add_rms_norm_kernelIN3c104HalfELi0EEENSt9enable_ifIXooeqT0_Li0Entsr12_typeConvertIT_EE6existsEvE4typeEPS4_lS7_PKS4_fii
; %bb.0:
	s_clause 0x1
	s_load_b32 s16, s[0:1], 0x28
	s_load_b64 s[8:9], s[0:1], 0x10
	s_getreg_b32 s12, hwreg(HW_REG_IB_STS2, 6, 4)
	s_mov_b32 s3, exec_lo
                                        ; implicit-def: $sgpr13
                                        ; implicit-def: $sgpr14
	s_wait_kmcnt 0x0
	v_cmp_gt_i32_e64 s2, s16, v0
	v_cmpx_le_i32_e64 s16, v0
	s_xor_b32 s3, exec_lo, s3
	s_cbranch_execz .LBB7_2
; %bb.1:
	s_load_b32 s4, s[0:1], 0x3c
	s_bfe_u32 s5, ttmp6, 0x4000c
	s_and_b32 s6, ttmp6, 15
	s_add_co_i32 s5, s5, 1
	s_delay_alu instid0(SALU_CYCLE_1) | instskip(NEXT) | instid1(SALU_CYCLE_1)
	s_mul_i32 s5, ttmp9, s5
	s_add_co_i32 s6, s6, s5
	s_cmp_eq_u32 s12, 0
	s_cselect_b32 s13, ttmp9, s6
	s_wait_kmcnt 0x0
	s_and_b32 s14, s4, 0xffff
.LBB7_2:
	s_or_saveexec_b32 s3, s3
	s_clause 0x1
	s_load_b64 s[10:11], s[0:1], 0x18
	s_load_b128 s[4:7], s[0:1], 0x0
	v_dual_mov_b32 v3, 0 :: v_dual_mov_b32 v2, s13
	v_mov_b32_e32 v4, s14
	s_xor_b32 exec_lo, exec_lo, s3
	s_cbranch_execz .LBB7_6
; %bb.3:
	s_load_b32 s17, s[0:1], 0x3c
	s_bfe_u32 s13, ttmp6, 0x4000c
	s_and_b32 s14, ttmp6, 15
	s_add_co_i32 s13, s13, 1
	v_dual_mov_b32 v3, 0 :: v_dual_mov_b32 v1, v0
	s_mul_i32 s13, ttmp9, s13
	s_delay_alu instid0(SALU_CYCLE_1)
	s_add_co_i32 s14, s14, s13
	s_cmp_eq_u32 s12, 0
	s_mov_b32 s13, 0
	s_cselect_b32 s12, ttmp9, s14
	s_wait_kmcnt 0x0
	s_mul_u64 s[14:15], s[6:7], s[12:13]
	s_mul_i32 s18, s16, s12
	s_lshl_b64 s[14:15], s[14:15], 1
	s_delay_alu instid0(SALU_CYCLE_1)
	s_add_nc_u64 s[14:15], s[4:5], s[14:15]
	s_and_b32 s17, s17, 0xffff
.LBB7_4:                                ; =>This Inner Loop Header: Depth=1
	v_add_nc_u32_e32 v2, s18, v1
	global_load_u16 v4, v1, s[14:15] scale_offset
	global_load_u16 v5, v2, s[8:9] scale_offset
	s_wait_xcnt 0x1
	v_add_nc_u32_e32 v1, s17, v1
	s_delay_alu instid0(VALU_DEP_1) | instskip(SKIP_3) | instid1(VALU_DEP_1)
	v_cmp_le_i32_e32 vcc_lo, s16, v1
	s_or_b32 s13, vcc_lo, s13
	s_wait_loadcnt 0x0
	v_add_f16_e32 v4, v4, v5
	v_fma_mix_f32 v3, v4, v4, v3 op_sel_hi:[1,1,0]
	global_store_b16 v2, v4, s[8:9] scale_offset
	s_wait_xcnt 0x0
	s_and_not1_b32 exec_lo, exec_lo, s13
	s_cbranch_execnz .LBB7_4
; %bb.5:
	s_or_b32 exec_lo, exec_lo, s13
	v_dual_mov_b32 v2, s12 :: v_dual_mov_b32 v4, s17
.LBB7_6:
	s_or_b32 exec_lo, exec_lo, s3
	v_mbcnt_lo_u32_b32 v1, -1, 0
	v_and_b32_e32 v6, 0x3c0, v0
	s_mov_b32 s3, exec_lo
	s_delay_alu instid0(VALU_DEP_2) | instskip(NEXT) | instid1(VALU_DEP_2)
	v_cmp_ne_u32_e32 vcc_lo, 63, v1
	v_sub_nc_u32_e64 v6, v4, v6 clamp
	v_add_nc_u32_e32 v8, 1, v1
	v_add_co_ci_u32_e64 v5, null, 0, v1, vcc_lo
	v_cmp_gt_u32_e32 vcc_lo, 62, v1
	s_delay_alu instid0(VALU_DEP_2)
	v_lshlrev_b32_e32 v5, 2, v5
	v_cndmask_b32_e64 v7, 0, 2, vcc_lo
	v_cmp_lt_u32_e32 vcc_lo, v8, v6
	v_add_nc_u32_e32 v8, 2, v1
	ds_bpermute_b32 v5, v5, v3
	v_add_lshl_u32 v7, v7, v1, 2
	s_wait_dscnt 0x0
	v_add_f32_e32 v5, v3, v5
	s_delay_alu instid0(VALU_DEP_1)
	v_cndmask_b32_e32 v3, v3, v5, vcc_lo
	v_cmp_gt_u32_e32 vcc_lo, 60, v1
	ds_bpermute_b32 v5, v7, v3
	v_cndmask_b32_e64 v7, 0, 4, vcc_lo
	v_cmp_lt_u32_e32 vcc_lo, v8, v6
	v_add_nc_u32_e32 v8, 4, v1
	s_delay_alu instid0(VALU_DEP_3) | instskip(SKIP_2) | instid1(VALU_DEP_1)
	v_add_lshl_u32 v7, v7, v1, 2
	s_wait_dscnt 0x0
	v_add_f32_e32 v5, v3, v5
	v_cndmask_b32_e32 v3, v3, v5, vcc_lo
	v_cmp_gt_u32_e32 vcc_lo, 56, v1
	ds_bpermute_b32 v5, v7, v3
	v_cndmask_b32_e64 v7, 0, 8, vcc_lo
	v_cmp_lt_u32_e32 vcc_lo, v8, v6
	v_add_nc_u32_e32 v8, 8, v1
	s_delay_alu instid0(VALU_DEP_3) | instskip(SKIP_2) | instid1(VALU_DEP_1)
	v_add_lshl_u32 v7, v7, v1, 2
	s_wait_dscnt 0x0
	v_add_f32_e32 v5, v3, v5
	v_cndmask_b32_e32 v3, v3, v5, vcc_lo
	v_cmp_gt_u32_e32 vcc_lo, 48, v1
	ds_bpermute_b32 v5, v7, v3
	v_cndmask_b32_e64 v7, 0, 16, vcc_lo
	v_cmp_lt_u32_e32 vcc_lo, v8, v6
	s_delay_alu instid0(VALU_DEP_2) | instskip(SKIP_2) | instid1(VALU_DEP_1)
	v_add_lshl_u32 v7, v7, v1, 2
	s_wait_dscnt 0x0
	v_add_f32_e32 v5, v3, v5
	v_cndmask_b32_e32 v5, v3, v5, vcc_lo
	ds_bpermute_b32 v3, v7, v5
	v_add_nc_u32_e32 v7, 16, v1
	s_delay_alu instid0(VALU_DEP_1) | instskip(SKIP_2) | instid1(VALU_DEP_1)
	v_cmp_lt_u32_e32 vcc_lo, v7, v6
	s_wait_dscnt 0x0
	v_dual_add_f32 v8, v5, v3 :: v_dual_lshlrev_b32 v3, 2, v1
	v_dual_cndmask_b32 v5, v5, v8, vcc_lo :: v_dual_bitop2_b32 v8, 32, v1 bitop3:0x54
	ds_bpermute_b32 v7, v3, v5 offset:128
	v_cmp_lt_u32_e32 vcc_lo, v8, v6
	s_wait_dscnt 0x0
	v_add_f32_e32 v7, v5, v7
	s_delay_alu instid0(VALU_DEP_1)
	v_cndmask_b32_e32 v5, v5, v7, vcc_lo
	v_cmpx_eq_u32_e32 0, v1
; %bb.7:
	v_lshrrev_b32_e32 v6, 4, v0
	s_delay_alu instid0(VALU_DEP_1)
	v_and_b32_e32 v6, 60, v6
	ds_store_b32 v6, v5
; %bb.8:
	s_or_b32 exec_lo, exec_lo, s3
	s_delay_alu instid0(SALU_CYCLE_1)
	s_mov_b32 s12, exec_lo
	s_wait_storecnt_dscnt 0x0
	s_barrier_signal -1
	s_barrier_wait -1
	v_cmpx_gt_u32_e32 16, v0
	s_cbranch_execz .LBB7_10
; %bb.9:
	ds_load_b32 v5, v3
	v_and_b32_e32 v6, 15, v1
	v_or_b32_e32 v3, 32, v3
	s_delay_alu instid0(VALU_DEP_2) | instskip(SKIP_1) | instid1(VALU_DEP_1)
	v_cmp_ne_u32_e32 vcc_lo, 15, v6
	v_add_co_ci_u32_e64 v7, null, 0, v1, vcc_lo
	v_dual_lshlrev_b32 v7, 2, v7 :: v_dual_add_nc_u32 v8, 63, v4
	v_add_nc_u32_e32 v10, 1, v6
	v_cmp_gt_u32_e32 vcc_lo, 14, v6
	v_add_nc_u32_e32 v11, 2, v6
	s_wait_dscnt 0x0
	ds_bpermute_b32 v7, v7, v5
	v_lshrrev_b32_e32 v8, 6, v8
	v_cmp_gt_u32_e64 s3, 12, v6
	v_cndmask_b32_e64 v9, 0, 2, vcc_lo
	s_delay_alu instid0(VALU_DEP_1)
	v_add_lshl_u32 v9, v9, v1, 2
	s_wait_dscnt 0x0
	v_add_f32_e32 v7, v5, v7
	v_cmp_lt_u32_e32 vcc_lo, v10, v8
	v_cndmask_b32_e64 v10, 0, 4, s3
	v_cmp_lt_u32_e64 s3, v11, v8
	s_delay_alu instid0(VALU_DEP_4) | instskip(NEXT) | instid1(VALU_DEP_3)
	v_cndmask_b32_e32 v7, v5, v7, vcc_lo
	v_add_lshl_u32 v1, v10, v1, 2
	ds_bpermute_b32 v9, v9, v7
	s_wait_dscnt 0x0
	v_add_f32_e32 v9, v7, v9
	s_delay_alu instid0(VALU_DEP_1)
	v_dual_cndmask_b32 v7, v7, v9, s3 :: v_dual_add_nc_u32 v9, 4, v6
	v_add_nc_u32_e32 v6, 8, v6
	ds_bpermute_b32 v1, v1, v7
	v_cmp_lt_u32_e64 s3, v9, v8
	s_wait_dscnt 0x0
	v_add_f32_e32 v1, v7, v1
	s_delay_alu instid0(VALU_DEP_1) | instskip(SKIP_4) | instid1(VALU_DEP_1)
	v_cndmask_b32_e64 v1, v7, v1, s3
	v_cmp_lt_u32_e64 s3, v6, v8
	ds_bpermute_b32 v3, v3, v1
	s_wait_dscnt 0x0
	v_add_f32_e32 v3, v1, v3
	v_cndmask_b32_e64 v1, v1, v3, s3
	s_delay_alu instid0(VALU_DEP_1)
	v_cndmask_b32_e32 v5, v5, v1, vcc_lo
.LBB7_10:
	s_or_b32 exec_lo, exec_lo, s12
	s_delay_alu instid0(SALU_CYCLE_1)
	s_mov_b32 s3, exec_lo
	v_cmpx_eq_u32_e32 0, v0
	s_cbranch_execz .LBB7_12
; %bb.11:
	s_cvt_f32_i32 s12, s16
	s_wait_xcnt 0x0
	s_load_b32 s0, s[0:1], 0x20
	s_delay_alu instid0(SALU_CYCLE_1) | instskip(SKIP_1) | instid1(VALU_DEP_2)
	v_div_scale_f32 v1, null, s12, s12, v5
	v_div_scale_f32 v7, vcc_lo, v5, s12, v5
	v_rcp_f32_e32 v3, v1
	v_nop
	s_delay_alu instid0(TRANS32_DEP_1) | instskip(NEXT) | instid1(VALU_DEP_1)
	v_fma_f32 v6, -v1, v3, 1.0
	v_fmac_f32_e32 v3, v6, v3
	s_delay_alu instid0(VALU_DEP_1) | instskip(NEXT) | instid1(VALU_DEP_1)
	v_mul_f32_e32 v6, v7, v3
	v_fma_f32 v8, -v1, v6, v7
	s_delay_alu instid0(VALU_DEP_1) | instskip(NEXT) | instid1(VALU_DEP_1)
	v_fmac_f32_e32 v6, v8, v3
	v_fma_f32 v1, -v1, v6, v7
	s_delay_alu instid0(VALU_DEP_1) | instskip(NEXT) | instid1(VALU_DEP_1)
	v_div_fmas_f32 v1, v1, v3, v6
	v_div_fixup_f32 v1, v1, s12, v5
	s_wait_kmcnt 0x0
	s_delay_alu instid0(VALU_DEP_1) | instskip(NEXT) | instid1(VALU_DEP_1)
	v_add_f32_e32 v1, s0, v1
	v_mul_f32_e32 v3, 0x4b800000, v1
	v_cmp_gt_f32_e32 vcc_lo, 0x800000, v1
	s_delay_alu instid0(VALU_DEP_2) | instskip(NEXT) | instid1(VALU_DEP_1)
	v_cndmask_b32_e32 v1, v1, v3, vcc_lo
	v_rsq_f32_e32 v1, v1
	v_nop
	s_delay_alu instid0(TRANS32_DEP_1) | instskip(NEXT) | instid1(VALU_DEP_1)
	v_mul_f32_e32 v3, 0x45800000, v1
	v_dual_cndmask_b32 v1, v1, v3, vcc_lo :: v_dual_mov_b32 v3, 0
	ds_store_b32 v3, v1 offset:64
.LBB7_12:
	s_or_b32 exec_lo, exec_lo, s3
	s_wait_dscnt 0x0
	s_barrier_signal -1
	s_barrier_wait -1
	s_wait_xcnt 0x0
	s_and_saveexec_b32 s0, s2
	s_cbranch_execz .LBB7_15
; %bb.13:
	v_mov_b32_e32 v3, 0
	v_mul_lo_u32 v6, s16, v2
	s_mov_b32 s0, 0
	s_wait_kmcnt 0x0
	s_delay_alu instid0(VALU_DEP_2)
	v_mul_u64_e32 v[8:9], s[6:7], v[2:3]
	ds_load_b32 v5, v3 offset:64
	v_lshl_add_u64 v[2:3], v[8:9], 1, s[4:5]
.LBB7_14:                               ; =>This Inner Loop Header: Depth=1
	v_add_nc_u32_e32 v1, v6, v0
	global_load_u16 v7, v1, s[8:9] scale_offset
	global_load_u16 v10, v0, s[10:11] scale_offset
	s_wait_xcnt 0x1
	v_ashrrev_i32_e32 v1, 31, v0
	s_delay_alu instid0(VALU_DEP_1) | instskip(SKIP_2) | instid1(VALU_DEP_1)
	v_lshl_add_u64 v[8:9], v[0:1], 1, v[2:3]
	s_wait_xcnt 0x0
	v_add_nc_u32_e32 v0, v0, v4
	v_cmp_le_i32_e32 vcc_lo, s16, v0
	s_or_b32 s0, vcc_lo, s0
	s_wait_loadcnt_dscnt 0x100
	v_fma_mixlo_f16 v1, v5, v7, 0 op_sel_hi:[0,1,0]
	s_wait_loadcnt 0x0
	s_delay_alu instid0(VALU_DEP_1)
	v_mul_f16_e32 v1, v10, v1
	global_store_b16 v[8:9], v1, off
	s_wait_xcnt 0x0
	s_and_not1_b32 exec_lo, exec_lo, s0
	s_cbranch_execnz .LBB7_14
.LBB7_15:
	s_endpgm
	.section	.rodata,"a",@progbits
	.p2align	6, 0x0
	.amdhsa_kernel _ZN4vllm25fused_add_rms_norm_kernelIN3c104HalfELi0EEENSt9enable_ifIXooeqT0_Li0Entsr12_typeConvertIT_EE6existsEvE4typeEPS4_lS7_PKS4_fii
		.amdhsa_group_segment_fixed_size 68
		.amdhsa_private_segment_fixed_size 0
		.amdhsa_kernarg_size 304
		.amdhsa_user_sgpr_count 2
		.amdhsa_user_sgpr_dispatch_ptr 0
		.amdhsa_user_sgpr_queue_ptr 0
		.amdhsa_user_sgpr_kernarg_segment_ptr 1
		.amdhsa_user_sgpr_dispatch_id 0
		.amdhsa_user_sgpr_kernarg_preload_length 0
		.amdhsa_user_sgpr_kernarg_preload_offset 0
		.amdhsa_user_sgpr_private_segment_size 0
		.amdhsa_wavefront_size32 1
		.amdhsa_uses_dynamic_stack 0
		.amdhsa_enable_private_segment 0
		.amdhsa_system_sgpr_workgroup_id_x 1
		.amdhsa_system_sgpr_workgroup_id_y 0
		.amdhsa_system_sgpr_workgroup_id_z 0
		.amdhsa_system_sgpr_workgroup_info 0
		.amdhsa_system_vgpr_workitem_id 0
		.amdhsa_next_free_vgpr 12
		.amdhsa_next_free_sgpr 19
		.amdhsa_named_barrier_count 0
		.amdhsa_reserve_vcc 1
		.amdhsa_float_round_mode_32 0
		.amdhsa_float_round_mode_16_64 0
		.amdhsa_float_denorm_mode_32 3
		.amdhsa_float_denorm_mode_16_64 3
		.amdhsa_fp16_overflow 0
		.amdhsa_memory_ordered 1
		.amdhsa_forward_progress 1
		.amdhsa_inst_pref_size 11
		.amdhsa_round_robin_scheduling 0
		.amdhsa_exception_fp_ieee_invalid_op 0
		.amdhsa_exception_fp_denorm_src 0
		.amdhsa_exception_fp_ieee_div_zero 0
		.amdhsa_exception_fp_ieee_overflow 0
		.amdhsa_exception_fp_ieee_underflow 0
		.amdhsa_exception_fp_ieee_inexact 0
		.amdhsa_exception_int_div_zero 0
	.end_amdhsa_kernel
	.section	.text._ZN4vllm25fused_add_rms_norm_kernelIN3c104HalfELi0EEENSt9enable_ifIXooeqT0_Li0Entsr12_typeConvertIT_EE6existsEvE4typeEPS4_lS7_PKS4_fii,"axG",@progbits,_ZN4vllm25fused_add_rms_norm_kernelIN3c104HalfELi0EEENSt9enable_ifIXooeqT0_Li0Entsr12_typeConvertIT_EE6existsEvE4typeEPS4_lS7_PKS4_fii,comdat
.Lfunc_end7:
	.size	_ZN4vllm25fused_add_rms_norm_kernelIN3c104HalfELi0EEENSt9enable_ifIXooeqT0_Li0Entsr12_typeConvertIT_EE6existsEvE4typeEPS4_lS7_PKS4_fii, .Lfunc_end7-_ZN4vllm25fused_add_rms_norm_kernelIN3c104HalfELi0EEENSt9enable_ifIXooeqT0_Li0Entsr12_typeConvertIT_EE6existsEvE4typeEPS4_lS7_PKS4_fii
                                        ; -- End function
	.set _ZN4vllm25fused_add_rms_norm_kernelIN3c104HalfELi0EEENSt9enable_ifIXooeqT0_Li0Entsr12_typeConvertIT_EE6existsEvE4typeEPS4_lS7_PKS4_fii.num_vgpr, 12
	.set _ZN4vllm25fused_add_rms_norm_kernelIN3c104HalfELi0EEENSt9enable_ifIXooeqT0_Li0Entsr12_typeConvertIT_EE6existsEvE4typeEPS4_lS7_PKS4_fii.num_agpr, 0
	.set _ZN4vllm25fused_add_rms_norm_kernelIN3c104HalfELi0EEENSt9enable_ifIXooeqT0_Li0Entsr12_typeConvertIT_EE6existsEvE4typeEPS4_lS7_PKS4_fii.numbered_sgpr, 19
	.set _ZN4vllm25fused_add_rms_norm_kernelIN3c104HalfELi0EEENSt9enable_ifIXooeqT0_Li0Entsr12_typeConvertIT_EE6existsEvE4typeEPS4_lS7_PKS4_fii.num_named_barrier, 0
	.set _ZN4vllm25fused_add_rms_norm_kernelIN3c104HalfELi0EEENSt9enable_ifIXooeqT0_Li0Entsr12_typeConvertIT_EE6existsEvE4typeEPS4_lS7_PKS4_fii.private_seg_size, 0
	.set _ZN4vllm25fused_add_rms_norm_kernelIN3c104HalfELi0EEENSt9enable_ifIXooeqT0_Li0Entsr12_typeConvertIT_EE6existsEvE4typeEPS4_lS7_PKS4_fii.uses_vcc, 1
	.set _ZN4vllm25fused_add_rms_norm_kernelIN3c104HalfELi0EEENSt9enable_ifIXooeqT0_Li0Entsr12_typeConvertIT_EE6existsEvE4typeEPS4_lS7_PKS4_fii.uses_flat_scratch, 0
	.set _ZN4vllm25fused_add_rms_norm_kernelIN3c104HalfELi0EEENSt9enable_ifIXooeqT0_Li0Entsr12_typeConvertIT_EE6existsEvE4typeEPS4_lS7_PKS4_fii.has_dyn_sized_stack, 0
	.set _ZN4vllm25fused_add_rms_norm_kernelIN3c104HalfELi0EEENSt9enable_ifIXooeqT0_Li0Entsr12_typeConvertIT_EE6existsEvE4typeEPS4_lS7_PKS4_fii.has_recursion, 0
	.set _ZN4vllm25fused_add_rms_norm_kernelIN3c104HalfELi0EEENSt9enable_ifIXooeqT0_Li0Entsr12_typeConvertIT_EE6existsEvE4typeEPS4_lS7_PKS4_fii.has_indirect_call, 0
	.section	.AMDGPU.csdata,"",@progbits
; Kernel info:
; codeLenInByte = 1396
; TotalNumSgprs: 21
; NumVgprs: 12
; ScratchSize: 0
; MemoryBound: 0
; FloatMode: 240
; IeeeMode: 1
; LDSByteSize: 68 bytes/workgroup (compile time only)
; SGPRBlocks: 0
; VGPRBlocks: 0
; NumSGPRsForWavesPerEU: 21
; NumVGPRsForWavesPerEU: 12
; NamedBarCnt: 0
; Occupancy: 16
; WaveLimiterHint : 0
; COMPUTE_PGM_RSRC2:SCRATCH_EN: 0
; COMPUTE_PGM_RSRC2:USER_SGPR: 2
; COMPUTE_PGM_RSRC2:TRAP_HANDLER: 0
; COMPUTE_PGM_RSRC2:TGID_X_EN: 1
; COMPUTE_PGM_RSRC2:TGID_Y_EN: 0
; COMPUTE_PGM_RSRC2:TGID_Z_EN: 0
; COMPUTE_PGM_RSRC2:TIDIG_COMP_CNT: 0
	.section	.text._ZN4vllm25fused_add_rms_norm_kernelIN3c108BFloat16ELi0EEENSt9enable_ifIXooeqT0_Li0Entsr12_typeConvertIT_EE6existsEvE4typeEPS4_lS7_PKS4_fii,"axG",@progbits,_ZN4vllm25fused_add_rms_norm_kernelIN3c108BFloat16ELi0EEENSt9enable_ifIXooeqT0_Li0Entsr12_typeConvertIT_EE6existsEvE4typeEPS4_lS7_PKS4_fii,comdat
	.protected	_ZN4vllm25fused_add_rms_norm_kernelIN3c108BFloat16ELi0EEENSt9enable_ifIXooeqT0_Li0Entsr12_typeConvertIT_EE6existsEvE4typeEPS4_lS7_PKS4_fii ; -- Begin function _ZN4vllm25fused_add_rms_norm_kernelIN3c108BFloat16ELi0EEENSt9enable_ifIXooeqT0_Li0Entsr12_typeConvertIT_EE6existsEvE4typeEPS4_lS7_PKS4_fii
	.globl	_ZN4vllm25fused_add_rms_norm_kernelIN3c108BFloat16ELi0EEENSt9enable_ifIXooeqT0_Li0Entsr12_typeConvertIT_EE6existsEvE4typeEPS4_lS7_PKS4_fii
	.p2align	8
	.type	_ZN4vllm25fused_add_rms_norm_kernelIN3c108BFloat16ELi0EEENSt9enable_ifIXooeqT0_Li0Entsr12_typeConvertIT_EE6existsEvE4typeEPS4_lS7_PKS4_fii,@function
_ZN4vllm25fused_add_rms_norm_kernelIN3c108BFloat16ELi0EEENSt9enable_ifIXooeqT0_Li0Entsr12_typeConvertIT_EE6existsEvE4typeEPS4_lS7_PKS4_fii: ; @_ZN4vllm25fused_add_rms_norm_kernelIN3c108BFloat16ELi0EEENSt9enable_ifIXooeqT0_Li0Entsr12_typeConvertIT_EE6existsEvE4typeEPS4_lS7_PKS4_fii
; %bb.0:
	s_clause 0x1
	s_load_b32 s16, s[0:1], 0x28
	s_load_b64 s[8:9], s[0:1], 0x10
	s_getreg_b32 s12, hwreg(HW_REG_IB_STS2, 6, 4)
	s_mov_b32 s3, exec_lo
                                        ; implicit-def: $sgpr13
                                        ; implicit-def: $sgpr14
	s_wait_kmcnt 0x0
	v_cmp_gt_i32_e64 s2, s16, v0
	v_cmpx_le_i32_e64 s16, v0
	s_xor_b32 s3, exec_lo, s3
	s_cbranch_execz .LBB8_2
; %bb.1:
	s_load_b32 s4, s[0:1], 0x3c
	s_bfe_u32 s5, ttmp6, 0x4000c
	s_and_b32 s6, ttmp6, 15
	s_add_co_i32 s5, s5, 1
	s_delay_alu instid0(SALU_CYCLE_1) | instskip(NEXT) | instid1(SALU_CYCLE_1)
	s_mul_i32 s5, ttmp9, s5
	s_add_co_i32 s6, s6, s5
	s_cmp_eq_u32 s12, 0
	s_cselect_b32 s13, ttmp9, s6
	s_wait_kmcnt 0x0
	s_and_b32 s14, s4, 0xffff
.LBB8_2:
	s_or_saveexec_b32 s3, s3
	s_clause 0x1
	s_load_b64 s[10:11], s[0:1], 0x18
	s_load_b128 s[4:7], s[0:1], 0x0
	v_dual_mov_b32 v3, 0 :: v_dual_mov_b32 v2, s13
	v_mov_b32_e32 v4, s14
	s_xor_b32 exec_lo, exec_lo, s3
	s_cbranch_execz .LBB8_6
; %bb.3:
	s_load_b32 s17, s[0:1], 0x3c
	s_bfe_u32 s13, ttmp6, 0x4000c
	s_and_b32 s14, ttmp6, 15
	s_add_co_i32 s13, s13, 1
	v_dual_mov_b32 v3, 0 :: v_dual_mov_b32 v1, v0
	s_mul_i32 s13, ttmp9, s13
	s_delay_alu instid0(SALU_CYCLE_1)
	s_add_co_i32 s14, s14, s13
	s_cmp_eq_u32 s12, 0
	s_mov_b32 s13, 0
	s_cselect_b32 s12, ttmp9, s14
	s_wait_kmcnt 0x0
	s_mul_u64 s[14:15], s[6:7], s[12:13]
	s_mul_i32 s18, s16, s12
	s_lshl_b64 s[14:15], s[14:15], 1
	s_delay_alu instid0(SALU_CYCLE_1)
	s_add_nc_u64 s[14:15], s[4:5], s[14:15]
	s_and_b32 s17, s17, 0xffff
.LBB8_4:                                ; =>This Inner Loop Header: Depth=1
	v_add_nc_u32_e32 v2, s18, v1
	global_load_u16 v4, v1, s[14:15] scale_offset
	global_load_u16 v5, v2, s[8:9] scale_offset
	s_wait_loadcnt 0x0
	v_dual_lshlrev_b32 v4, 16, v4 :: v_dual_lshlrev_b32 v5, 16, v5
	s_delay_alu instid0(VALU_DEP_1) | instskip(NEXT) | instid1(VALU_DEP_1)
	v_add_f32_e32 v4, v5, v4
	v_bfe_u32 v5, v4, 16, 1
	s_delay_alu instid0(VALU_DEP_1) | instskip(NEXT) | instid1(VALU_DEP_1)
	v_add3_u32 v5, v4, v5, 0x7fff
	v_lshrrev_b32_e32 v5, 16, v5
	v_cmp_o_f32_e32 vcc_lo, v4, v4
	s_delay_alu instid0(VALU_DEP_2) | instskip(SKIP_1) | instid1(VALU_DEP_1)
	v_cndmask_b32_e32 v4, 0x7fc0, v5, vcc_lo
	s_wait_xcnt 0x1
	v_dual_add_nc_u32 v1, s17, v1 :: v_dual_lshlrev_b32 v5, 16, v4
	s_delay_alu instid0(VALU_DEP_1) | instskip(NEXT) | instid1(VALU_DEP_2)
	v_cmp_le_i32_e32 vcc_lo, s16, v1
	v_fmac_f32_e32 v3, v5, v5
	s_or_b32 s13, vcc_lo, s13
	global_store_b16 v2, v4, s[8:9] scale_offset
	s_wait_xcnt 0x0
	s_and_not1_b32 exec_lo, exec_lo, s13
	s_cbranch_execnz .LBB8_4
; %bb.5:
	s_or_b32 exec_lo, exec_lo, s13
	v_dual_mov_b32 v2, s12 :: v_dual_mov_b32 v4, s17
.LBB8_6:
	s_or_b32 exec_lo, exec_lo, s3
	v_mbcnt_lo_u32_b32 v1, -1, 0
	v_and_b32_e32 v6, 0x3c0, v0
	s_mov_b32 s3, exec_lo
	s_delay_alu instid0(VALU_DEP_2) | instskip(NEXT) | instid1(VALU_DEP_2)
	v_cmp_ne_u32_e32 vcc_lo, 63, v1
	v_sub_nc_u32_e64 v6, v4, v6 clamp
	v_add_nc_u32_e32 v8, 1, v1
	v_add_co_ci_u32_e64 v5, null, 0, v1, vcc_lo
	v_cmp_gt_u32_e32 vcc_lo, 62, v1
	s_delay_alu instid0(VALU_DEP_2)
	v_lshlrev_b32_e32 v5, 2, v5
	v_cndmask_b32_e64 v7, 0, 2, vcc_lo
	v_cmp_lt_u32_e32 vcc_lo, v8, v6
	v_add_nc_u32_e32 v8, 2, v1
	ds_bpermute_b32 v5, v5, v3
	v_add_lshl_u32 v7, v7, v1, 2
	s_wait_dscnt 0x0
	v_add_f32_e32 v5, v3, v5
	s_delay_alu instid0(VALU_DEP_1)
	v_cndmask_b32_e32 v3, v3, v5, vcc_lo
	v_cmp_gt_u32_e32 vcc_lo, 60, v1
	ds_bpermute_b32 v5, v7, v3
	v_cndmask_b32_e64 v7, 0, 4, vcc_lo
	v_cmp_lt_u32_e32 vcc_lo, v8, v6
	v_add_nc_u32_e32 v8, 4, v1
	s_delay_alu instid0(VALU_DEP_3) | instskip(SKIP_2) | instid1(VALU_DEP_1)
	v_add_lshl_u32 v7, v7, v1, 2
	s_wait_dscnt 0x0
	v_add_f32_e32 v5, v3, v5
	v_cndmask_b32_e32 v3, v3, v5, vcc_lo
	v_cmp_gt_u32_e32 vcc_lo, 56, v1
	ds_bpermute_b32 v5, v7, v3
	v_cndmask_b32_e64 v7, 0, 8, vcc_lo
	v_cmp_lt_u32_e32 vcc_lo, v8, v6
	v_add_nc_u32_e32 v8, 8, v1
	s_delay_alu instid0(VALU_DEP_3) | instskip(SKIP_2) | instid1(VALU_DEP_1)
	v_add_lshl_u32 v7, v7, v1, 2
	s_wait_dscnt 0x0
	v_add_f32_e32 v5, v3, v5
	v_cndmask_b32_e32 v3, v3, v5, vcc_lo
	v_cmp_gt_u32_e32 vcc_lo, 48, v1
	ds_bpermute_b32 v5, v7, v3
	v_cndmask_b32_e64 v7, 0, 16, vcc_lo
	v_cmp_lt_u32_e32 vcc_lo, v8, v6
	s_delay_alu instid0(VALU_DEP_2) | instskip(SKIP_2) | instid1(VALU_DEP_1)
	v_add_lshl_u32 v7, v7, v1, 2
	s_wait_dscnt 0x0
	v_add_f32_e32 v5, v3, v5
	v_cndmask_b32_e32 v5, v3, v5, vcc_lo
	ds_bpermute_b32 v3, v7, v5
	v_add_nc_u32_e32 v7, 16, v1
	s_delay_alu instid0(VALU_DEP_1) | instskip(SKIP_2) | instid1(VALU_DEP_1)
	v_cmp_lt_u32_e32 vcc_lo, v7, v6
	s_wait_dscnt 0x0
	v_dual_add_f32 v8, v5, v3 :: v_dual_lshlrev_b32 v3, 2, v1
	v_dual_cndmask_b32 v5, v5, v8, vcc_lo :: v_dual_bitop2_b32 v8, 32, v1 bitop3:0x54
	ds_bpermute_b32 v7, v3, v5 offset:128
	v_cmp_lt_u32_e32 vcc_lo, v8, v6
	s_wait_dscnt 0x0
	v_add_f32_e32 v7, v5, v7
	s_delay_alu instid0(VALU_DEP_1)
	v_cndmask_b32_e32 v5, v5, v7, vcc_lo
	v_cmpx_eq_u32_e32 0, v1
; %bb.7:
	v_lshrrev_b32_e32 v6, 4, v0
	s_delay_alu instid0(VALU_DEP_1)
	v_and_b32_e32 v6, 60, v6
	ds_store_b32 v6, v5
; %bb.8:
	s_or_b32 exec_lo, exec_lo, s3
	s_delay_alu instid0(SALU_CYCLE_1)
	s_mov_b32 s12, exec_lo
	s_wait_storecnt_dscnt 0x0
	s_barrier_signal -1
	s_barrier_wait -1
	v_cmpx_gt_u32_e32 16, v0
	s_cbranch_execz .LBB8_10
; %bb.9:
	ds_load_b32 v5, v3
	v_and_b32_e32 v6, 15, v1
	v_or_b32_e32 v3, 32, v3
	s_delay_alu instid0(VALU_DEP_2) | instskip(SKIP_1) | instid1(VALU_DEP_1)
	v_cmp_ne_u32_e32 vcc_lo, 15, v6
	v_add_co_ci_u32_e64 v7, null, 0, v1, vcc_lo
	v_dual_lshlrev_b32 v7, 2, v7 :: v_dual_add_nc_u32 v8, 63, v4
	v_add_nc_u32_e32 v10, 1, v6
	v_cmp_gt_u32_e32 vcc_lo, 14, v6
	v_add_nc_u32_e32 v11, 2, v6
	s_wait_dscnt 0x0
	ds_bpermute_b32 v7, v7, v5
	v_lshrrev_b32_e32 v8, 6, v8
	v_cmp_gt_u32_e64 s3, 12, v6
	v_cndmask_b32_e64 v9, 0, 2, vcc_lo
	s_delay_alu instid0(VALU_DEP_1)
	v_add_lshl_u32 v9, v9, v1, 2
	s_wait_dscnt 0x0
	v_add_f32_e32 v7, v5, v7
	v_cmp_lt_u32_e32 vcc_lo, v10, v8
	v_cndmask_b32_e64 v10, 0, 4, s3
	v_cmp_lt_u32_e64 s3, v11, v8
	s_delay_alu instid0(VALU_DEP_4) | instskip(NEXT) | instid1(VALU_DEP_3)
	v_cndmask_b32_e32 v7, v5, v7, vcc_lo
	v_add_lshl_u32 v1, v10, v1, 2
	ds_bpermute_b32 v9, v9, v7
	s_wait_dscnt 0x0
	v_add_f32_e32 v9, v7, v9
	s_delay_alu instid0(VALU_DEP_1)
	v_dual_cndmask_b32 v7, v7, v9, s3 :: v_dual_add_nc_u32 v9, 4, v6
	v_add_nc_u32_e32 v6, 8, v6
	ds_bpermute_b32 v1, v1, v7
	v_cmp_lt_u32_e64 s3, v9, v8
	s_wait_dscnt 0x0
	v_add_f32_e32 v1, v7, v1
	s_delay_alu instid0(VALU_DEP_1) | instskip(SKIP_4) | instid1(VALU_DEP_1)
	v_cndmask_b32_e64 v1, v7, v1, s3
	v_cmp_lt_u32_e64 s3, v6, v8
	ds_bpermute_b32 v3, v3, v1
	s_wait_dscnt 0x0
	v_add_f32_e32 v3, v1, v3
	v_cndmask_b32_e64 v1, v1, v3, s3
	s_delay_alu instid0(VALU_DEP_1)
	v_cndmask_b32_e32 v5, v5, v1, vcc_lo
.LBB8_10:
	s_or_b32 exec_lo, exec_lo, s12
	s_delay_alu instid0(SALU_CYCLE_1)
	s_mov_b32 s3, exec_lo
	v_cmpx_eq_u32_e32 0, v0
	s_cbranch_execz .LBB8_12
; %bb.11:
	s_cvt_f32_i32 s12, s16
	s_wait_xcnt 0x0
	s_load_b32 s0, s[0:1], 0x20
	s_delay_alu instid0(SALU_CYCLE_1) | instskip(SKIP_1) | instid1(VALU_DEP_2)
	v_div_scale_f32 v1, null, s12, s12, v5
	v_div_scale_f32 v7, vcc_lo, v5, s12, v5
	v_rcp_f32_e32 v3, v1
	v_nop
	s_delay_alu instid0(TRANS32_DEP_1) | instskip(NEXT) | instid1(VALU_DEP_1)
	v_fma_f32 v6, -v1, v3, 1.0
	v_fmac_f32_e32 v3, v6, v3
	s_delay_alu instid0(VALU_DEP_1) | instskip(NEXT) | instid1(VALU_DEP_1)
	v_mul_f32_e32 v6, v7, v3
	v_fma_f32 v8, -v1, v6, v7
	s_delay_alu instid0(VALU_DEP_1) | instskip(NEXT) | instid1(VALU_DEP_1)
	v_fmac_f32_e32 v6, v8, v3
	v_fma_f32 v1, -v1, v6, v7
	s_delay_alu instid0(VALU_DEP_1) | instskip(NEXT) | instid1(VALU_DEP_1)
	v_div_fmas_f32 v1, v1, v3, v6
	v_div_fixup_f32 v1, v1, s12, v5
	s_wait_kmcnt 0x0
	s_delay_alu instid0(VALU_DEP_1) | instskip(NEXT) | instid1(VALU_DEP_1)
	v_add_f32_e32 v1, s0, v1
	v_mul_f32_e32 v3, 0x4b800000, v1
	v_cmp_gt_f32_e32 vcc_lo, 0x800000, v1
	s_delay_alu instid0(VALU_DEP_2) | instskip(NEXT) | instid1(VALU_DEP_1)
	v_cndmask_b32_e32 v1, v1, v3, vcc_lo
	v_rsq_f32_e32 v1, v1
	v_nop
	s_delay_alu instid0(TRANS32_DEP_1) | instskip(NEXT) | instid1(VALU_DEP_1)
	v_mul_f32_e32 v3, 0x45800000, v1
	v_dual_cndmask_b32 v1, v1, v3, vcc_lo :: v_dual_mov_b32 v3, 0
	ds_store_b32 v3, v1 offset:64
.LBB8_12:
	s_or_b32 exec_lo, exec_lo, s3
	s_wait_dscnt 0x0
	s_barrier_signal -1
	s_barrier_wait -1
	s_wait_xcnt 0x0
	s_and_saveexec_b32 s0, s2
	s_cbranch_execz .LBB8_15
; %bb.13:
	v_mov_b32_e32 v3, 0
	v_mul_lo_u32 v6, s16, v2
	s_mov_b32 s1, 0
	s_wait_kmcnt 0x0
	s_delay_alu instid0(VALU_DEP_2)
	v_mul_u64_e32 v[8:9], s[6:7], v[2:3]
	ds_load_b32 v5, v3 offset:64
	v_lshl_add_u64 v[2:3], v[8:9], 1, s[4:5]
.LBB8_14:                               ; =>This Inner Loop Header: Depth=1
	v_add_nc_u32_e32 v1, v6, v0
	global_load_u16 v7, v1, s[8:9] scale_offset
	global_load_u16 v8, v0, s[10:11] scale_offset
	s_wait_loadcnt 0x0
	s_wait_xcnt 0x1
	v_dual_lshlrev_b32 v1, 16, v7 :: v_dual_lshlrev_b32 v8, 16, v8
	s_wait_dscnt 0x0
	s_delay_alu instid0(VALU_DEP_1) | instskip(NEXT) | instid1(VALU_DEP_1)
	v_mul_f32_e32 v1, v5, v1
	v_bfe_u32 v7, v1, 16, 1
	v_cmp_o_f32_e32 vcc_lo, v1, v1
	s_delay_alu instid0(VALU_DEP_2) | instskip(NEXT) | instid1(VALU_DEP_1)
	v_add3_u32 v7, v1, v7, 0x7fff
	v_and_b32_e32 v7, 0xffff0000, v7
	s_delay_alu instid0(VALU_DEP_1) | instskip(NEXT) | instid1(VALU_DEP_1)
	v_cndmask_b32_e32 v1, 0x7fc00000, v7, vcc_lo
	v_mul_f32_e32 v7, v1, v8
	v_ashrrev_i32_e32 v1, 31, v0
	s_delay_alu instid0(VALU_DEP_2) | instskip(NEXT) | instid1(VALU_DEP_1)
	v_bfe_u32 v8, v7, 16, 1
	v_add3_u32 v10, v7, v8, 0x7fff
	s_delay_alu instid0(VALU_DEP_3) | instskip(SKIP_1) | instid1(VALU_DEP_2)
	v_lshl_add_u64 v[8:9], v[0:1], 1, v[2:3]
	s_wait_xcnt 0x0
	v_dual_add_nc_u32 v0, v0, v4 :: v_dual_lshrrev_b32 v1, 16, v10
	v_cmp_o_f32_e64 s0, v7, v7
	s_delay_alu instid0(VALU_DEP_2) | instskip(NEXT) | instid1(VALU_DEP_2)
	v_cmp_le_i32_e32 vcc_lo, s16, v0
	v_cndmask_b32_e64 v1, 0x7fc0, v1, s0
	s_or_b32 s1, vcc_lo, s1
	global_store_b16 v[8:9], v1, off
	s_wait_xcnt 0x0
	s_and_not1_b32 exec_lo, exec_lo, s1
	s_cbranch_execnz .LBB8_14
.LBB8_15:
	s_endpgm
	.section	.rodata,"a",@progbits
	.p2align	6, 0x0
	.amdhsa_kernel _ZN4vllm25fused_add_rms_norm_kernelIN3c108BFloat16ELi0EEENSt9enable_ifIXooeqT0_Li0Entsr12_typeConvertIT_EE6existsEvE4typeEPS4_lS7_PKS4_fii
		.amdhsa_group_segment_fixed_size 68
		.amdhsa_private_segment_fixed_size 0
		.amdhsa_kernarg_size 304
		.amdhsa_user_sgpr_count 2
		.amdhsa_user_sgpr_dispatch_ptr 0
		.amdhsa_user_sgpr_queue_ptr 0
		.amdhsa_user_sgpr_kernarg_segment_ptr 1
		.amdhsa_user_sgpr_dispatch_id 0
		.amdhsa_user_sgpr_kernarg_preload_length 0
		.amdhsa_user_sgpr_kernarg_preload_offset 0
		.amdhsa_user_sgpr_private_segment_size 0
		.amdhsa_wavefront_size32 1
		.amdhsa_uses_dynamic_stack 0
		.amdhsa_enable_private_segment 0
		.amdhsa_system_sgpr_workgroup_id_x 1
		.amdhsa_system_sgpr_workgroup_id_y 0
		.amdhsa_system_sgpr_workgroup_id_z 0
		.amdhsa_system_sgpr_workgroup_info 0
		.amdhsa_system_vgpr_workitem_id 0
		.amdhsa_next_free_vgpr 12
		.amdhsa_next_free_sgpr 19
		.amdhsa_named_barrier_count 0
		.amdhsa_reserve_vcc 1
		.amdhsa_float_round_mode_32 0
		.amdhsa_float_round_mode_16_64 0
		.amdhsa_float_denorm_mode_32 3
		.amdhsa_float_denorm_mode_16_64 3
		.amdhsa_fp16_overflow 0
		.amdhsa_memory_ordered 1
		.amdhsa_forward_progress 1
		.amdhsa_inst_pref_size 13
		.amdhsa_round_robin_scheduling 0
		.amdhsa_exception_fp_ieee_invalid_op 0
		.amdhsa_exception_fp_denorm_src 0
		.amdhsa_exception_fp_ieee_div_zero 0
		.amdhsa_exception_fp_ieee_overflow 0
		.amdhsa_exception_fp_ieee_underflow 0
		.amdhsa_exception_fp_ieee_inexact 0
		.amdhsa_exception_int_div_zero 0
	.end_amdhsa_kernel
	.section	.text._ZN4vllm25fused_add_rms_norm_kernelIN3c108BFloat16ELi0EEENSt9enable_ifIXooeqT0_Li0Entsr12_typeConvertIT_EE6existsEvE4typeEPS4_lS7_PKS4_fii,"axG",@progbits,_ZN4vllm25fused_add_rms_norm_kernelIN3c108BFloat16ELi0EEENSt9enable_ifIXooeqT0_Li0Entsr12_typeConvertIT_EE6existsEvE4typeEPS4_lS7_PKS4_fii,comdat
.Lfunc_end8:
	.size	_ZN4vllm25fused_add_rms_norm_kernelIN3c108BFloat16ELi0EEENSt9enable_ifIXooeqT0_Li0Entsr12_typeConvertIT_EE6existsEvE4typeEPS4_lS7_PKS4_fii, .Lfunc_end8-_ZN4vllm25fused_add_rms_norm_kernelIN3c108BFloat16ELi0EEENSt9enable_ifIXooeqT0_Li0Entsr12_typeConvertIT_EE6existsEvE4typeEPS4_lS7_PKS4_fii
                                        ; -- End function
	.set _ZN4vllm25fused_add_rms_norm_kernelIN3c108BFloat16ELi0EEENSt9enable_ifIXooeqT0_Li0Entsr12_typeConvertIT_EE6existsEvE4typeEPS4_lS7_PKS4_fii.num_vgpr, 12
	.set _ZN4vllm25fused_add_rms_norm_kernelIN3c108BFloat16ELi0EEENSt9enable_ifIXooeqT0_Li0Entsr12_typeConvertIT_EE6existsEvE4typeEPS4_lS7_PKS4_fii.num_agpr, 0
	.set _ZN4vllm25fused_add_rms_norm_kernelIN3c108BFloat16ELi0EEENSt9enable_ifIXooeqT0_Li0Entsr12_typeConvertIT_EE6existsEvE4typeEPS4_lS7_PKS4_fii.numbered_sgpr, 19
	.set _ZN4vllm25fused_add_rms_norm_kernelIN3c108BFloat16ELi0EEENSt9enable_ifIXooeqT0_Li0Entsr12_typeConvertIT_EE6existsEvE4typeEPS4_lS7_PKS4_fii.num_named_barrier, 0
	.set _ZN4vllm25fused_add_rms_norm_kernelIN3c108BFloat16ELi0EEENSt9enable_ifIXooeqT0_Li0Entsr12_typeConvertIT_EE6existsEvE4typeEPS4_lS7_PKS4_fii.private_seg_size, 0
	.set _ZN4vllm25fused_add_rms_norm_kernelIN3c108BFloat16ELi0EEENSt9enable_ifIXooeqT0_Li0Entsr12_typeConvertIT_EE6existsEvE4typeEPS4_lS7_PKS4_fii.uses_vcc, 1
	.set _ZN4vllm25fused_add_rms_norm_kernelIN3c108BFloat16ELi0EEENSt9enable_ifIXooeqT0_Li0Entsr12_typeConvertIT_EE6existsEvE4typeEPS4_lS7_PKS4_fii.uses_flat_scratch, 0
	.set _ZN4vllm25fused_add_rms_norm_kernelIN3c108BFloat16ELi0EEENSt9enable_ifIXooeqT0_Li0Entsr12_typeConvertIT_EE6existsEvE4typeEPS4_lS7_PKS4_fii.has_dyn_sized_stack, 0
	.set _ZN4vllm25fused_add_rms_norm_kernelIN3c108BFloat16ELi0EEENSt9enable_ifIXooeqT0_Li0Entsr12_typeConvertIT_EE6existsEvE4typeEPS4_lS7_PKS4_fii.has_recursion, 0
	.set _ZN4vllm25fused_add_rms_norm_kernelIN3c108BFloat16ELi0EEENSt9enable_ifIXooeqT0_Li0Entsr12_typeConvertIT_EE6existsEvE4typeEPS4_lS7_PKS4_fii.has_indirect_call, 0
	.section	.AMDGPU.csdata,"",@progbits
; Kernel info:
; codeLenInByte = 1572
; TotalNumSgprs: 21
; NumVgprs: 12
; ScratchSize: 0
; MemoryBound: 0
; FloatMode: 240
; IeeeMode: 1
; LDSByteSize: 68 bytes/workgroup (compile time only)
; SGPRBlocks: 0
; VGPRBlocks: 0
; NumSGPRsForWavesPerEU: 21
; NumVGPRsForWavesPerEU: 12
; NamedBarCnt: 0
; Occupancy: 16
; WaveLimiterHint : 0
; COMPUTE_PGM_RSRC2:SCRATCH_EN: 0
; COMPUTE_PGM_RSRC2:USER_SGPR: 2
; COMPUTE_PGM_RSRC2:TRAP_HANDLER: 0
; COMPUTE_PGM_RSRC2:TGID_X_EN: 1
; COMPUTE_PGM_RSRC2:TGID_Y_EN: 0
; COMPUTE_PGM_RSRC2:TGID_Z_EN: 0
; COMPUTE_PGM_RSRC2:TIDIG_COMP_CNT: 0
	.section	.AMDGPU.gpr_maximums,"",@progbits
	.set amdgpu.max_num_vgpr, 0
	.set amdgpu.max_num_agpr, 0
	.set amdgpu.max_num_sgpr, 0
	.section	.AMDGPU.csdata,"",@progbits
	.type	__hip_cuid_3b03a8dd0ae712cd,@object ; @__hip_cuid_3b03a8dd0ae712cd
	.section	.bss,"aw",@nobits
	.globl	__hip_cuid_3b03a8dd0ae712cd
__hip_cuid_3b03a8dd0ae712cd:
	.byte	0                               ; 0x0
	.size	__hip_cuid_3b03a8dd0ae712cd, 1

	.ident	"AMD clang version 22.0.0git (https://github.com/RadeonOpenCompute/llvm-project roc-7.2.4 26084 f58b06dce1f9c15707c5f808fd002e18c2accf7e)"
	.section	".note.GNU-stack","",@progbits
	.addrsig
	.addrsig_sym __hip_cuid_3b03a8dd0ae712cd
	.amdgpu_metadata
---
amdhsa.kernels:
  - .args:
      - .actual_access:  write_only
        .address_space:  global
        .offset:         0
        .size:           8
        .value_kind:     global_buffer
      - .actual_access:  read_only
        .address_space:  global
        .offset:         8
        .size:           8
        .value_kind:     global_buffer
      - .offset:         16
        .size:           8
        .value_kind:     by_value
      - .actual_access:  read_only
        .address_space:  global
        .offset:         24
        .size:           8
        .value_kind:     global_buffer
      - .offset:         32
        .size:           4
        .value_kind:     by_value
      - .offset:         36
        .size:           4
        .value_kind:     by_value
      - .offset:         40
        .size:           4
        .value_kind:     by_value
      - .offset:         48
        .size:           4
        .value_kind:     hidden_block_count_x
      - .offset:         52
        .size:           4
        .value_kind:     hidden_block_count_y
      - .offset:         56
        .size:           4
        .value_kind:     hidden_block_count_z
      - .offset:         60
        .size:           2
        .value_kind:     hidden_group_size_x
      - .offset:         62
        .size:           2
        .value_kind:     hidden_group_size_y
      - .offset:         64
        .size:           2
        .value_kind:     hidden_group_size_z
      - .offset:         66
        .size:           2
        .value_kind:     hidden_remainder_x
      - .offset:         68
        .size:           2
        .value_kind:     hidden_remainder_y
      - .offset:         70
        .size:           2
        .value_kind:     hidden_remainder_z
      - .offset:         88
        .size:           8
        .value_kind:     hidden_global_offset_x
      - .offset:         96
        .size:           8
        .value_kind:     hidden_global_offset_y
      - .offset:         104
        .size:           8
        .value_kind:     hidden_global_offset_z
      - .offset:         112
        .size:           2
        .value_kind:     hidden_grid_dims
    .group_segment_fixed_size: 68
    .kernarg_segment_align: 8
    .kernarg_segment_size: 304
    .language:       OpenCL C
    .language_version:
      - 2
      - 0
    .max_flat_workgroup_size: 1024
    .name:           _ZN4vllm15rms_norm_kernelIfEEvPT_PKS1_lS4_fii
    .private_segment_fixed_size: 0
    .sgpr_count:     20
    .sgpr_spill_count: 0
    .symbol:         _ZN4vllm15rms_norm_kernelIfEEvPT_PKS1_lS4_fii.kd
    .uniform_work_group_size: 1
    .uses_dynamic_stack: false
    .vgpr_count:     12
    .vgpr_spill_count: 0
    .wavefront_size: 32
  - .args:
      - .actual_access:  write_only
        .address_space:  global
        .offset:         0
        .size:           8
        .value_kind:     global_buffer
      - .actual_access:  read_only
        .address_space:  global
        .offset:         8
        .size:           8
        .value_kind:     global_buffer
      - .offset:         16
        .size:           8
        .value_kind:     by_value
      - .actual_access:  read_only
        .address_space:  global
        .offset:         24
        .size:           8
        .value_kind:     global_buffer
      - .offset:         32
        .size:           4
        .value_kind:     by_value
      - .offset:         36
        .size:           4
        .value_kind:     by_value
      - .offset:         40
        .size:           4
        .value_kind:     by_value
      - .offset:         48
        .size:           4
        .value_kind:     hidden_block_count_x
      - .offset:         52
        .size:           4
        .value_kind:     hidden_block_count_y
      - .offset:         56
        .size:           4
        .value_kind:     hidden_block_count_z
      - .offset:         60
        .size:           2
        .value_kind:     hidden_group_size_x
      - .offset:         62
        .size:           2
        .value_kind:     hidden_group_size_y
      - .offset:         64
        .size:           2
        .value_kind:     hidden_group_size_z
      - .offset:         66
        .size:           2
        .value_kind:     hidden_remainder_x
      - .offset:         68
        .size:           2
        .value_kind:     hidden_remainder_y
      - .offset:         70
        .size:           2
        .value_kind:     hidden_remainder_z
      - .offset:         88
        .size:           8
        .value_kind:     hidden_global_offset_x
      - .offset:         96
        .size:           8
        .value_kind:     hidden_global_offset_y
      - .offset:         104
        .size:           8
        .value_kind:     hidden_global_offset_z
      - .offset:         112
        .size:           2
        .value_kind:     hidden_grid_dims
    .group_segment_fixed_size: 68
    .kernarg_segment_align: 8
    .kernarg_segment_size: 304
    .language:       OpenCL C
    .language_version:
      - 2
      - 0
    .max_flat_workgroup_size: 1024
    .name:           _ZN4vllm15rms_norm_kernelIN3c104HalfEEEvPT_PKS3_lS6_fii
    .private_segment_fixed_size: 0
    .sgpr_count:     20
    .sgpr_spill_count: 0
    .symbol:         _ZN4vllm15rms_norm_kernelIN3c104HalfEEEvPT_PKS3_lS6_fii.kd
    .uniform_work_group_size: 1
    .uses_dynamic_stack: false
    .vgpr_count:     12
    .vgpr_spill_count: 0
    .wavefront_size: 32
  - .args:
      - .actual_access:  write_only
        .address_space:  global
        .offset:         0
        .size:           8
        .value_kind:     global_buffer
      - .actual_access:  read_only
        .address_space:  global
        .offset:         8
        .size:           8
        .value_kind:     global_buffer
      - .offset:         16
        .size:           8
        .value_kind:     by_value
      - .actual_access:  read_only
        .address_space:  global
        .offset:         24
        .size:           8
        .value_kind:     global_buffer
      - .offset:         32
        .size:           4
        .value_kind:     by_value
      - .offset:         36
        .size:           4
        .value_kind:     by_value
      - .offset:         40
        .size:           4
        .value_kind:     by_value
      - .offset:         48
        .size:           4
        .value_kind:     hidden_block_count_x
      - .offset:         52
        .size:           4
        .value_kind:     hidden_block_count_y
      - .offset:         56
        .size:           4
        .value_kind:     hidden_block_count_z
      - .offset:         60
        .size:           2
        .value_kind:     hidden_group_size_x
      - .offset:         62
        .size:           2
        .value_kind:     hidden_group_size_y
      - .offset:         64
        .size:           2
        .value_kind:     hidden_group_size_z
      - .offset:         66
        .size:           2
        .value_kind:     hidden_remainder_x
      - .offset:         68
        .size:           2
        .value_kind:     hidden_remainder_y
      - .offset:         70
        .size:           2
        .value_kind:     hidden_remainder_z
      - .offset:         88
        .size:           8
        .value_kind:     hidden_global_offset_x
      - .offset:         96
        .size:           8
        .value_kind:     hidden_global_offset_y
      - .offset:         104
        .size:           8
        .value_kind:     hidden_global_offset_z
      - .offset:         112
        .size:           2
        .value_kind:     hidden_grid_dims
    .group_segment_fixed_size: 68
    .kernarg_segment_align: 8
    .kernarg_segment_size: 304
    .language:       OpenCL C
    .language_version:
      - 2
      - 0
    .max_flat_workgroup_size: 1024
    .name:           _ZN4vllm15rms_norm_kernelIN3c108BFloat16EEEvPT_PKS3_lS6_fii
    .private_segment_fixed_size: 0
    .sgpr_count:     20
    .sgpr_spill_count: 0
    .symbol:         _ZN4vllm15rms_norm_kernelIN3c108BFloat16EEEvPT_PKS3_lS6_fii.kd
    .uniform_work_group_size: 1
    .uses_dynamic_stack: false
    .vgpr_count:     12
    .vgpr_spill_count: 0
    .wavefront_size: 32
  - .args:
      - .address_space:  global
        .offset:         0
        .size:           8
        .value_kind:     global_buffer
      - .offset:         8
        .size:           8
        .value_kind:     by_value
      - .address_space:  global
        .offset:         16
        .size:           8
        .value_kind:     global_buffer
      - .actual_access:  read_only
        .address_space:  global
        .offset:         24
        .size:           8
        .value_kind:     global_buffer
      - .offset:         32
        .size:           4
        .value_kind:     by_value
      - .offset:         36
        .size:           4
        .value_kind:     by_value
      - .offset:         40
        .size:           4
        .value_kind:     by_value
      - .offset:         48
        .size:           4
        .value_kind:     hidden_block_count_x
      - .offset:         52
        .size:           4
        .value_kind:     hidden_block_count_y
      - .offset:         56
        .size:           4
        .value_kind:     hidden_block_count_z
      - .offset:         60
        .size:           2
        .value_kind:     hidden_group_size_x
      - .offset:         62
        .size:           2
        .value_kind:     hidden_group_size_y
      - .offset:         64
        .size:           2
        .value_kind:     hidden_group_size_z
      - .offset:         66
        .size:           2
        .value_kind:     hidden_remainder_x
      - .offset:         68
        .size:           2
        .value_kind:     hidden_remainder_y
      - .offset:         70
        .size:           2
        .value_kind:     hidden_remainder_z
      - .offset:         88
        .size:           8
        .value_kind:     hidden_global_offset_x
      - .offset:         96
        .size:           8
        .value_kind:     hidden_global_offset_y
      - .offset:         104
        .size:           8
        .value_kind:     hidden_global_offset_z
      - .offset:         112
        .size:           2
        .value_kind:     hidden_grid_dims
    .group_segment_fixed_size: 68
    .kernarg_segment_align: 8
    .kernarg_segment_size: 304
    .language:       OpenCL C
    .language_version:
      - 2
      - 0
    .max_flat_workgroup_size: 1024
    .name:           _ZN4vllm25fused_add_rms_norm_kernelIfLi8EEENSt9enable_ifIXooeqT0_Li0Entsr12_typeConvertIT_EE6existsEvE4typeEPS2_lS5_PKS2_fii
    .private_segment_fixed_size: 0
    .sgpr_count:     21
    .sgpr_spill_count: 0
    .symbol:         _ZN4vllm25fused_add_rms_norm_kernelIfLi8EEENSt9enable_ifIXooeqT0_Li0Entsr12_typeConvertIT_EE6existsEvE4typeEPS2_lS5_PKS2_fii.kd
    .uniform_work_group_size: 1
    .uses_dynamic_stack: false
    .vgpr_count:     12
    .vgpr_spill_count: 0
    .wavefront_size: 32
  - .args:
      - .address_space:  global
        .offset:         0
        .size:           8
        .value_kind:     global_buffer
      - .offset:         8
        .size:           8
        .value_kind:     by_value
      - .address_space:  global
        .offset:         16
        .size:           8
        .value_kind:     global_buffer
      - .actual_access:  read_only
        .address_space:  global
        .offset:         24
        .size:           8
        .value_kind:     global_buffer
      - .offset:         32
        .size:           4
        .value_kind:     by_value
      - .offset:         36
        .size:           4
        .value_kind:     by_value
      - .offset:         40
        .size:           4
        .value_kind:     by_value
      - .offset:         48
        .size:           4
        .value_kind:     hidden_block_count_x
      - .offset:         52
        .size:           4
        .value_kind:     hidden_block_count_y
      - .offset:         56
        .size:           4
        .value_kind:     hidden_block_count_z
      - .offset:         60
        .size:           2
        .value_kind:     hidden_group_size_x
      - .offset:         62
        .size:           2
        .value_kind:     hidden_group_size_y
      - .offset:         64
        .size:           2
        .value_kind:     hidden_group_size_z
      - .offset:         66
        .size:           2
        .value_kind:     hidden_remainder_x
      - .offset:         68
        .size:           2
        .value_kind:     hidden_remainder_y
      - .offset:         70
        .size:           2
        .value_kind:     hidden_remainder_z
      - .offset:         88
        .size:           8
        .value_kind:     hidden_global_offset_x
      - .offset:         96
        .size:           8
        .value_kind:     hidden_global_offset_y
      - .offset:         104
        .size:           8
        .value_kind:     hidden_global_offset_z
      - .offset:         112
        .size:           2
        .value_kind:     hidden_grid_dims
    .group_segment_fixed_size: 68
    .kernarg_segment_align: 8
    .kernarg_segment_size: 304
    .language:       OpenCL C
    .language_version:
      - 2
      - 0
    .max_flat_workgroup_size: 1024
    .name:           _ZN4vllm25fused_add_rms_norm_kernelIN3c104HalfELi8EEENSt9enable_ifIXaagtT0_Li0Esr12_typeConvertIT_EE6existsEvE4typeEPS4_lS7_PKS4_fii
    .private_segment_fixed_size: 0
    .sgpr_count:     22
    .sgpr_spill_count: 0
    .symbol:         _ZN4vllm25fused_add_rms_norm_kernelIN3c104HalfELi8EEENSt9enable_ifIXaagtT0_Li0Esr12_typeConvertIT_EE6existsEvE4typeEPS4_lS7_PKS4_fii.kd
    .uniform_work_group_size: 1
    .uses_dynamic_stack: false
    .vgpr_count:     29
    .vgpr_spill_count: 0
    .wavefront_size: 32
  - .args:
      - .address_space:  global
        .offset:         0
        .size:           8
        .value_kind:     global_buffer
      - .offset:         8
        .size:           8
        .value_kind:     by_value
      - .address_space:  global
        .offset:         16
        .size:           8
        .value_kind:     global_buffer
      - .actual_access:  read_only
        .address_space:  global
        .offset:         24
        .size:           8
        .value_kind:     global_buffer
      - .offset:         32
        .size:           4
        .value_kind:     by_value
      - .offset:         36
        .size:           4
        .value_kind:     by_value
      - .offset:         40
        .size:           4
        .value_kind:     by_value
      - .offset:         48
        .size:           4
        .value_kind:     hidden_block_count_x
      - .offset:         52
        .size:           4
        .value_kind:     hidden_block_count_y
      - .offset:         56
        .size:           4
        .value_kind:     hidden_block_count_z
      - .offset:         60
        .size:           2
        .value_kind:     hidden_group_size_x
      - .offset:         62
        .size:           2
        .value_kind:     hidden_group_size_y
      - .offset:         64
        .size:           2
        .value_kind:     hidden_group_size_z
      - .offset:         66
        .size:           2
        .value_kind:     hidden_remainder_x
      - .offset:         68
        .size:           2
        .value_kind:     hidden_remainder_y
      - .offset:         70
        .size:           2
        .value_kind:     hidden_remainder_z
      - .offset:         88
        .size:           8
        .value_kind:     hidden_global_offset_x
      - .offset:         96
        .size:           8
        .value_kind:     hidden_global_offset_y
      - .offset:         104
        .size:           8
        .value_kind:     hidden_global_offset_z
      - .offset:         112
        .size:           2
        .value_kind:     hidden_grid_dims
    .group_segment_fixed_size: 68
    .kernarg_segment_align: 8
    .kernarg_segment_size: 304
    .language:       OpenCL C
    .language_version:
      - 2
      - 0
    .max_flat_workgroup_size: 1024
    .name:           _ZN4vllm25fused_add_rms_norm_kernelIN3c108BFloat16ELi8EEENSt9enable_ifIXooeqT0_Li0Entsr12_typeConvertIT_EE6existsEvE4typeEPS4_lS7_PKS4_fii
    .private_segment_fixed_size: 0
    .sgpr_count:     21
    .sgpr_spill_count: 0
    .symbol:         _ZN4vllm25fused_add_rms_norm_kernelIN3c108BFloat16ELi8EEENSt9enable_ifIXooeqT0_Li0Entsr12_typeConvertIT_EE6existsEvE4typeEPS4_lS7_PKS4_fii.kd
    .uniform_work_group_size: 1
    .uses_dynamic_stack: false
    .vgpr_count:     12
    .vgpr_spill_count: 0
    .wavefront_size: 32
  - .args:
      - .address_space:  global
        .offset:         0
        .size:           8
        .value_kind:     global_buffer
      - .offset:         8
        .size:           8
        .value_kind:     by_value
      - .address_space:  global
        .offset:         16
        .size:           8
        .value_kind:     global_buffer
      - .actual_access:  read_only
        .address_space:  global
        .offset:         24
        .size:           8
        .value_kind:     global_buffer
      - .offset:         32
        .size:           4
        .value_kind:     by_value
      - .offset:         36
        .size:           4
        .value_kind:     by_value
      - .offset:         40
        .size:           4
        .value_kind:     by_value
      - .offset:         48
        .size:           4
        .value_kind:     hidden_block_count_x
      - .offset:         52
        .size:           4
        .value_kind:     hidden_block_count_y
      - .offset:         56
        .size:           4
        .value_kind:     hidden_block_count_z
      - .offset:         60
        .size:           2
        .value_kind:     hidden_group_size_x
      - .offset:         62
        .size:           2
        .value_kind:     hidden_group_size_y
      - .offset:         64
        .size:           2
        .value_kind:     hidden_group_size_z
      - .offset:         66
        .size:           2
        .value_kind:     hidden_remainder_x
      - .offset:         68
        .size:           2
        .value_kind:     hidden_remainder_y
      - .offset:         70
        .size:           2
        .value_kind:     hidden_remainder_z
      - .offset:         88
        .size:           8
        .value_kind:     hidden_global_offset_x
      - .offset:         96
        .size:           8
        .value_kind:     hidden_global_offset_y
      - .offset:         104
        .size:           8
        .value_kind:     hidden_global_offset_z
      - .offset:         112
        .size:           2
        .value_kind:     hidden_grid_dims
    .group_segment_fixed_size: 68
    .kernarg_segment_align: 8
    .kernarg_segment_size: 304
    .language:       OpenCL C
    .language_version:
      - 2
      - 0
    .max_flat_workgroup_size: 1024
    .name:           _ZN4vllm25fused_add_rms_norm_kernelIfLi0EEENSt9enable_ifIXooeqT0_Li0Entsr12_typeConvertIT_EE6existsEvE4typeEPS2_lS5_PKS2_fii
    .private_segment_fixed_size: 0
    .sgpr_count:     21
    .sgpr_spill_count: 0
    .symbol:         _ZN4vllm25fused_add_rms_norm_kernelIfLi0EEENSt9enable_ifIXooeqT0_Li0Entsr12_typeConvertIT_EE6existsEvE4typeEPS2_lS5_PKS2_fii.kd
    .uniform_work_group_size: 1
    .uses_dynamic_stack: false
    .vgpr_count:     12
    .vgpr_spill_count: 0
    .wavefront_size: 32
  - .args:
      - .address_space:  global
        .offset:         0
        .size:           8
        .value_kind:     global_buffer
      - .offset:         8
        .size:           8
        .value_kind:     by_value
      - .address_space:  global
        .offset:         16
        .size:           8
        .value_kind:     global_buffer
      - .actual_access:  read_only
        .address_space:  global
        .offset:         24
        .size:           8
        .value_kind:     global_buffer
      - .offset:         32
        .size:           4
        .value_kind:     by_value
      - .offset:         36
        .size:           4
        .value_kind:     by_value
      - .offset:         40
        .size:           4
        .value_kind:     by_value
      - .offset:         48
        .size:           4
        .value_kind:     hidden_block_count_x
      - .offset:         52
        .size:           4
        .value_kind:     hidden_block_count_y
      - .offset:         56
        .size:           4
        .value_kind:     hidden_block_count_z
      - .offset:         60
        .size:           2
        .value_kind:     hidden_group_size_x
      - .offset:         62
        .size:           2
        .value_kind:     hidden_group_size_y
      - .offset:         64
        .size:           2
        .value_kind:     hidden_group_size_z
      - .offset:         66
        .size:           2
        .value_kind:     hidden_remainder_x
      - .offset:         68
        .size:           2
        .value_kind:     hidden_remainder_y
      - .offset:         70
        .size:           2
        .value_kind:     hidden_remainder_z
      - .offset:         88
        .size:           8
        .value_kind:     hidden_global_offset_x
      - .offset:         96
        .size:           8
        .value_kind:     hidden_global_offset_y
      - .offset:         104
        .size:           8
        .value_kind:     hidden_global_offset_z
      - .offset:         112
        .size:           2
        .value_kind:     hidden_grid_dims
    .group_segment_fixed_size: 68
    .kernarg_segment_align: 8
    .kernarg_segment_size: 304
    .language:       OpenCL C
    .language_version:
      - 2
      - 0
    .max_flat_workgroup_size: 1024
    .name:           _ZN4vllm25fused_add_rms_norm_kernelIN3c104HalfELi0EEENSt9enable_ifIXooeqT0_Li0Entsr12_typeConvertIT_EE6existsEvE4typeEPS4_lS7_PKS4_fii
    .private_segment_fixed_size: 0
    .sgpr_count:     21
    .sgpr_spill_count: 0
    .symbol:         _ZN4vllm25fused_add_rms_norm_kernelIN3c104HalfELi0EEENSt9enable_ifIXooeqT0_Li0Entsr12_typeConvertIT_EE6existsEvE4typeEPS4_lS7_PKS4_fii.kd
    .uniform_work_group_size: 1
    .uses_dynamic_stack: false
    .vgpr_count:     12
    .vgpr_spill_count: 0
    .wavefront_size: 32
  - .args:
      - .address_space:  global
        .offset:         0
        .size:           8
        .value_kind:     global_buffer
      - .offset:         8
        .size:           8
        .value_kind:     by_value
      - .address_space:  global
        .offset:         16
        .size:           8
        .value_kind:     global_buffer
      - .actual_access:  read_only
        .address_space:  global
        .offset:         24
        .size:           8
        .value_kind:     global_buffer
      - .offset:         32
        .size:           4
        .value_kind:     by_value
      - .offset:         36
        .size:           4
        .value_kind:     by_value
      - .offset:         40
        .size:           4
        .value_kind:     by_value
      - .offset:         48
        .size:           4
        .value_kind:     hidden_block_count_x
      - .offset:         52
        .size:           4
        .value_kind:     hidden_block_count_y
      - .offset:         56
        .size:           4
        .value_kind:     hidden_block_count_z
      - .offset:         60
        .size:           2
        .value_kind:     hidden_group_size_x
      - .offset:         62
        .size:           2
        .value_kind:     hidden_group_size_y
      - .offset:         64
        .size:           2
        .value_kind:     hidden_group_size_z
      - .offset:         66
        .size:           2
        .value_kind:     hidden_remainder_x
      - .offset:         68
        .size:           2
        .value_kind:     hidden_remainder_y
      - .offset:         70
        .size:           2
        .value_kind:     hidden_remainder_z
      - .offset:         88
        .size:           8
        .value_kind:     hidden_global_offset_x
      - .offset:         96
        .size:           8
        .value_kind:     hidden_global_offset_y
      - .offset:         104
        .size:           8
        .value_kind:     hidden_global_offset_z
      - .offset:         112
        .size:           2
        .value_kind:     hidden_grid_dims
    .group_segment_fixed_size: 68
    .kernarg_segment_align: 8
    .kernarg_segment_size: 304
    .language:       OpenCL C
    .language_version:
      - 2
      - 0
    .max_flat_workgroup_size: 1024
    .name:           _ZN4vllm25fused_add_rms_norm_kernelIN3c108BFloat16ELi0EEENSt9enable_ifIXooeqT0_Li0Entsr12_typeConvertIT_EE6existsEvE4typeEPS4_lS7_PKS4_fii
    .private_segment_fixed_size: 0
    .sgpr_count:     21
    .sgpr_spill_count: 0
    .symbol:         _ZN4vllm25fused_add_rms_norm_kernelIN3c108BFloat16ELi0EEENSt9enable_ifIXooeqT0_Li0Entsr12_typeConvertIT_EE6existsEvE4typeEPS4_lS7_PKS4_fii.kd
    .uniform_work_group_size: 1
    .uses_dynamic_stack: false
    .vgpr_count:     12
    .vgpr_spill_count: 0
    .wavefront_size: 32
amdhsa.target:   amdgcn-amd-amdhsa--gfx1250
amdhsa.version:
  - 1
  - 2
...

	.end_amdgpu_metadata
